;; amdgpu-corpus repo=ROCm/rocFFT kind=compiled arch=gfx950 opt=O3
	.text
	.amdgcn_target "amdgcn-amd-amdhsa--gfx950"
	.amdhsa_code_object_version 6
	.protected	fft_rtc_back_len765_factors_17_3_5_3_wgs_255_tpt_51_halfLds_dp_op_CI_CI_unitstride_sbrr_dirReg ; -- Begin function fft_rtc_back_len765_factors_17_3_5_3_wgs_255_tpt_51_halfLds_dp_op_CI_CI_unitstride_sbrr_dirReg
	.globl	fft_rtc_back_len765_factors_17_3_5_3_wgs_255_tpt_51_halfLds_dp_op_CI_CI_unitstride_sbrr_dirReg
	.p2align	8
	.type	fft_rtc_back_len765_factors_17_3_5_3_wgs_255_tpt_51_halfLds_dp_op_CI_CI_unitstride_sbrr_dirReg,@function
fft_rtc_back_len765_factors_17_3_5_3_wgs_255_tpt_51_halfLds_dp_op_CI_CI_unitstride_sbrr_dirReg: ; @fft_rtc_back_len765_factors_17_3_5_3_wgs_255_tpt_51_halfLds_dp_op_CI_CI_unitstride_sbrr_dirReg
; %bb.0:
	s_load_dwordx4 s[4:7], s[0:1], 0x58
	s_load_dwordx4 s[8:11], s[0:1], 0x0
	;; [unrolled: 1-line block ×3, first 2 shown]
	v_mul_u32_u24_e32 v1, 0x506, v0
	v_lshrrev_b32_e32 v2, 16, v1
	v_mad_u64_u32 v[68:69], s[2:3], s2, 5, v[2:3]
	v_mov_b32_e32 v2, 0
	v_mov_b32_e32 v69, v2
	s_waitcnt lgkmcnt(0)
	v_cmp_lt_u64_e64 s[2:3], s[10:11], 2
	v_mov_b64_e32 v[4:5], 0
	s_and_b64 vcc, exec, s[2:3]
	v_mov_b64_e32 v[96:97], v[4:5]
	v_mov_b64_e32 v[100:101], v[68:69]
	s_cbranch_vccnz .LBB0_8
; %bb.1:
	s_load_dwordx2 s[2:3], s[0:1], 0x10
	s_add_u32 s16, s14, 8
	s_addc_u32 s17, s15, 0
	s_add_u32 s18, s12, 8
	s_addc_u32 s19, s13, 0
	s_waitcnt lgkmcnt(0)
	s_add_u32 s20, s2, 8
	v_mov_b64_e32 v[4:5], 0
	s_addc_u32 s21, s3, 0
	s_mov_b64 s[22:23], 1
	v_mov_b64_e32 v[96:97], v[4:5]
	v_mov_b64_e32 v[6:7], v[68:69]
.LBB0_2:                                ; =>This Inner Loop Header: Depth=1
	s_load_dwordx2 s[24:25], s[20:21], 0x0
                                        ; implicit-def: $vgpr100_vgpr101
	s_waitcnt lgkmcnt(0)
	v_or_b32_e32 v3, s25, v7
	v_cmp_ne_u64_e32 vcc, 0, v[2:3]
	s_and_saveexec_b64 s[2:3], vcc
	s_xor_b64 s[26:27], exec, s[2:3]
	s_cbranch_execz .LBB0_4
; %bb.3:                                ;   in Loop: Header=BB0_2 Depth=1
	v_cvt_f32_u32_e32 v1, s24
	v_cvt_f32_u32_e32 v3, s25
	s_sub_u32 s2, 0, s24
	s_subb_u32 s3, 0, s25
	v_fmac_f32_e32 v1, 0x4f800000, v3
	v_rcp_f32_e32 v1, v1
	s_nop 0
	v_mul_f32_e32 v1, 0x5f7ffffc, v1
	v_mul_f32_e32 v3, 0x2f800000, v1
	v_trunc_f32_e32 v3, v3
	v_fmac_f32_e32 v1, 0xcf800000, v3
	v_cvt_u32_f32_e32 v3, v3
	v_cvt_u32_f32_e32 v1, v1
	v_mul_lo_u32 v8, s2, v3
	v_mul_hi_u32 v10, s2, v1
	v_mul_lo_u32 v9, s3, v1
	v_add_u32_e32 v10, v10, v8
	v_mul_lo_u32 v12, s2, v1
	v_add_u32_e32 v13, v10, v9
	v_mul_hi_u32 v8, v1, v12
	v_mul_hi_u32 v11, v1, v13
	v_mul_lo_u32 v10, v1, v13
	v_mov_b32_e32 v9, v2
	v_lshl_add_u64 v[8:9], v[8:9], 0, v[10:11]
	v_mul_hi_u32 v11, v3, v12
	v_mul_lo_u32 v12, v3, v12
	v_add_co_u32_e32 v8, vcc, v8, v12
	v_mul_hi_u32 v10, v3, v13
	s_nop 0
	v_addc_co_u32_e32 v8, vcc, v9, v11, vcc
	v_mov_b32_e32 v9, v2
	s_nop 0
	v_addc_co_u32_e32 v11, vcc, 0, v10, vcc
	v_mul_lo_u32 v10, v3, v13
	v_lshl_add_u64 v[8:9], v[8:9], 0, v[10:11]
	v_add_co_u32_e32 v1, vcc, v1, v8
	v_mul_lo_u32 v10, s2, v1
	s_nop 0
	v_addc_co_u32_e32 v3, vcc, v3, v9, vcc
	v_mul_lo_u32 v8, s2, v3
	v_mul_hi_u32 v9, s2, v1
	v_add_u32_e32 v8, v9, v8
	v_mul_lo_u32 v9, s3, v1
	v_add_u32_e32 v12, v8, v9
	v_mul_hi_u32 v14, v3, v10
	v_mul_lo_u32 v15, v3, v10
	v_mul_hi_u32 v9, v1, v12
	v_mul_lo_u32 v8, v1, v12
	v_mul_hi_u32 v10, v1, v10
	v_mov_b32_e32 v11, v2
	v_lshl_add_u64 v[8:9], v[10:11], 0, v[8:9]
	v_add_co_u32_e32 v8, vcc, v8, v15
	v_mul_hi_u32 v13, v3, v12
	s_nop 0
	v_addc_co_u32_e32 v8, vcc, v9, v14, vcc
	v_mul_lo_u32 v10, v3, v12
	s_nop 0
	v_addc_co_u32_e32 v11, vcc, 0, v13, vcc
	v_mov_b32_e32 v9, v2
	v_lshl_add_u64 v[8:9], v[8:9], 0, v[10:11]
	v_add_co_u32_e32 v1, vcc, v1, v8
	v_mul_hi_u32 v10, v6, v1
	s_nop 0
	v_addc_co_u32_e32 v3, vcc, v3, v9, vcc
	v_mad_u64_u32 v[8:9], s[2:3], v6, v3, 0
	v_mov_b32_e32 v11, v2
	v_lshl_add_u64 v[8:9], v[10:11], 0, v[8:9]
	v_mad_u64_u32 v[12:13], s[2:3], v7, v1, 0
	v_add_co_u32_e32 v1, vcc, v8, v12
	v_mad_u64_u32 v[10:11], s[2:3], v7, v3, 0
	s_nop 0
	v_addc_co_u32_e32 v8, vcc, v9, v13, vcc
	v_mov_b32_e32 v9, v2
	s_nop 0
	v_addc_co_u32_e32 v11, vcc, 0, v11, vcc
	v_lshl_add_u64 v[8:9], v[8:9], 0, v[10:11]
	v_mul_lo_u32 v1, s25, v8
	v_mul_lo_u32 v3, s24, v9
	v_mad_u64_u32 v[10:11], s[2:3], s24, v8, 0
	v_add3_u32 v1, v11, v3, v1
	v_sub_u32_e32 v3, v7, v1
	v_mov_b32_e32 v11, s25
	v_sub_co_u32_e32 v14, vcc, v6, v10
	v_lshl_add_u64 v[12:13], v[8:9], 0, 1
	s_nop 0
	v_subb_co_u32_e64 v3, s[2:3], v3, v11, vcc
	v_subrev_co_u32_e64 v10, s[2:3], s24, v14
	v_subb_co_u32_e32 v1, vcc, v7, v1, vcc
	s_nop 0
	v_subbrev_co_u32_e64 v3, s[2:3], 0, v3, s[2:3]
	v_cmp_le_u32_e64 s[2:3], s25, v3
	v_cmp_le_u32_e32 vcc, s25, v1
	s_nop 0
	v_cndmask_b32_e64 v11, 0, -1, s[2:3]
	v_cmp_le_u32_e64 s[2:3], s24, v10
	s_nop 1
	v_cndmask_b32_e64 v10, 0, -1, s[2:3]
	v_cmp_eq_u32_e64 s[2:3], s25, v3
	s_nop 1
	v_cndmask_b32_e64 v3, v11, v10, s[2:3]
	v_lshl_add_u64 v[10:11], v[8:9], 0, 2
	v_cmp_ne_u32_e64 s[2:3], 0, v3
	s_nop 1
	v_cndmask_b32_e64 v3, v13, v11, s[2:3]
	v_cndmask_b32_e64 v11, 0, -1, vcc
	v_cmp_le_u32_e32 vcc, s24, v14
	s_nop 1
	v_cndmask_b32_e64 v13, 0, -1, vcc
	v_cmp_eq_u32_e32 vcc, s25, v1
	s_nop 1
	v_cndmask_b32_e32 v1, v11, v13, vcc
	v_cmp_ne_u32_e32 vcc, 0, v1
	v_cndmask_b32_e64 v1, v12, v10, s[2:3]
	s_nop 0
	v_cndmask_b32_e32 v101, v9, v3, vcc
	v_cndmask_b32_e32 v100, v8, v1, vcc
.LBB0_4:                                ;   in Loop: Header=BB0_2 Depth=1
	s_andn2_saveexec_b64 s[2:3], s[26:27]
	s_cbranch_execz .LBB0_6
; %bb.5:                                ;   in Loop: Header=BB0_2 Depth=1
	v_cvt_f32_u32_e32 v1, s24
	s_sub_i32 s26, 0, s24
	v_mov_b32_e32 v101, v2
	v_rcp_iflag_f32_e32 v1, v1
	s_nop 0
	v_mul_f32_e32 v1, 0x4f7ffffe, v1
	v_cvt_u32_f32_e32 v1, v1
	v_mul_lo_u32 v3, s26, v1
	v_mul_hi_u32 v3, v1, v3
	v_add_u32_e32 v1, v1, v3
	v_mul_hi_u32 v1, v6, v1
	v_mul_lo_u32 v3, v1, s24
	v_sub_u32_e32 v3, v6, v3
	v_add_u32_e32 v8, 1, v1
	v_subrev_u32_e32 v9, s24, v3
	v_cmp_le_u32_e32 vcc, s24, v3
	s_nop 1
	v_cndmask_b32_e32 v3, v3, v9, vcc
	v_cndmask_b32_e32 v1, v1, v8, vcc
	v_add_u32_e32 v8, 1, v1
	v_cmp_le_u32_e32 vcc, s24, v3
	s_nop 1
	v_cndmask_b32_e32 v100, v1, v8, vcc
.LBB0_6:                                ;   in Loop: Header=BB0_2 Depth=1
	s_or_b64 exec, exec, s[2:3]
	v_mad_u64_u32 v[8:9], s[2:3], v100, s24, 0
	s_load_dwordx2 s[2:3], s[18:19], 0x0
	v_mul_lo_u32 v1, v101, s24
	v_mul_lo_u32 v3, v100, s25
	s_load_dwordx2 s[24:25], s[16:17], 0x0
	s_add_u32 s22, s22, 1
	v_add3_u32 v1, v9, v3, v1
	v_sub_co_u32_e32 v3, vcc, v6, v8
	s_addc_u32 s23, s23, 0
	s_nop 0
	v_subb_co_u32_e32 v1, vcc, v7, v1, vcc
	s_add_u32 s16, s16, 8
	s_waitcnt lgkmcnt(0)
	v_mul_lo_u32 v6, s2, v1
	v_mul_lo_u32 v7, s3, v3
	v_mad_u64_u32 v[4:5], s[2:3], s2, v3, v[4:5]
	s_addc_u32 s17, s17, 0
	v_add3_u32 v5, v7, v5, v6
	v_mul_lo_u32 v1, s24, v1
	v_mul_lo_u32 v6, s25, v3
	v_mad_u64_u32 v[96:97], s[2:3], s24, v3, v[96:97]
	s_add_u32 s18, s18, 8
	v_add3_u32 v97, v6, v97, v1
	s_addc_u32 s19, s19, 0
	v_mov_b64_e32 v[6:7], s[10:11]
	s_add_u32 s20, s20, 8
	v_cmp_ge_u64_e32 vcc, s[22:23], v[6:7]
	s_addc_u32 s21, s21, 0
	s_cbranch_vccnz .LBB0_8
; %bb.7:                                ;   in Loop: Header=BB0_2 Depth=1
	v_mov_b64_e32 v[6:7], v[100:101]
	s_branch .LBB0_2
.LBB0_8:
	s_load_dwordx2 s[0:1], s[0:1], 0x28
	s_mov_b32 s16, 0x5050506
	v_mul_hi_u32 v1, v0, s16
	v_mul_u32_u24_e32 v1, 51, v1
	s_lshl_b64 s[2:3], s[10:11], 3
	v_sub_u32_e32 v98, v0, v1
	s_add_u32 s10, s14, s2
	s_waitcnt lgkmcnt(0)
	v_cmp_gt_u64_e32 vcc, s[0:1], v[100:101]
	v_cmp_gt_u32_e64 s[0:1], 45, v98
	s_addc_u32 s11, s15, s3
	s_and_b64 s[16:17], vcc, s[0:1]
                                        ; implicit-def: $vgpr66_vgpr67
                                        ; implicit-def: $vgpr62_vgpr63
                                        ; implicit-def: $vgpr54_vgpr55
                                        ; implicit-def: $vgpr46_vgpr47
                                        ; implicit-def: $vgpr34_vgpr35
                                        ; implicit-def: $vgpr26_vgpr27
                                        ; implicit-def: $vgpr14_vgpr15
                                        ; implicit-def: $vgpr6_vgpr7
                                        ; implicit-def: $vgpr2_vgpr3
                                        ; implicit-def: $vgpr10_vgpr11
                                        ; implicit-def: $vgpr18_vgpr19
                                        ; implicit-def: $vgpr22_vgpr23
                                        ; implicit-def: $vgpr30_vgpr31
                                        ; implicit-def: $vgpr38_vgpr39
                                        ; implicit-def: $vgpr50_vgpr51
                                        ; implicit-def: $vgpr58_vgpr59
                                        ; implicit-def: $vgpr42_vgpr43
	s_and_saveexec_b64 s[14:15], s[16:17]
	s_cbranch_execz .LBB0_10
; %bb.9:
	s_add_u32 s2, s12, s2
	s_addc_u32 s3, s13, s3
	s_load_dwordx2 s[2:3], s[2:3], 0x0
	v_mov_b32_e32 v99, 0
	s_waitcnt lgkmcnt(0)
	v_mul_lo_u32 v2, s3, v100
	v_mul_lo_u32 v3, s2, v101
	v_mad_u64_u32 v[0:1], s[2:3], s2, v100, 0
	v_add3_u32 v1, v1, v3, v2
	v_lshl_add_u64 v[0:1], v[0:1], 4, s[4:5]
	v_lshl_add_u64 v[0:1], v[4:5], 4, v[0:1]
	;; [unrolled: 1-line block ×3, first 2 shown]
	s_movk_i32 s2, 0x1000
	v_add_co_u32_e64 v34, s[2:3], s2, v32
	global_load_dwordx4 v[40:43], v[32:33], off
	global_load_dwordx4 v[56:59], v[32:33], off offset:720
	global_load_dwordx4 v[48:51], v[32:33], off offset:1440
	;; [unrolled: 1-line block ×5, first 2 shown]
	v_addc_co_u32_e64 v35, s[2:3], 0, v33, s[2:3]
	s_movk_i32 s2, 0x2000
	s_nop 0
	v_add_co_u32_e64 v70, s[2:3], s2, v32
	global_load_dwordx4 v[16:19], v[34:35], off offset:224
	global_load_dwordx4 v[8:11], v[34:35], off offset:944
	;; [unrolled: 1-line block ×6, first 2 shown]
	v_addc_co_u32_e64 v71, s[2:3], 0, v33, s[2:3]
	global_load_dwordx4 v[32:35], v[70:71], off offset:448
	global_load_dwordx4 v[44:47], v[70:71], off offset:1168
	;; [unrolled: 1-line block ×5, first 2 shown]
.LBB0_10:
	s_or_b64 exec, exec, s[14:15]
	s_mov_b32 s2, 0xcccccccd
	v_mul_hi_u32 v69, v68, s2
	v_lshrrev_b32_e32 v69, 2, v69
	v_lshl_add_u32 v69, v69, 2, v69
	v_sub_u32_e32 v68, v68, v69
	v_mul_u32_u24_e32 v68, 0x2fd, v68
	v_lshlrev_b32_e32 v99, 3, v68
	s_and_saveexec_b64 s[2:3], s[0:1]
	s_cbranch_execz .LBB0_12
; %bb.11:
	s_mov_b32 s34, 0x7faef3
	s_mov_b32 s38, 0x370991
	s_waitcnt vmcnt(0)
	v_add_f64 v[122:123], v[64:65], v[56:57]
	s_mov_b32 s35, 0xbfef7484
	s_mov_b32 s36, 0xacd6c6b4
	;; [unrolled: 1-line block ×3, first 2 shown]
	v_add_f64 v[116:117], v[60:61], v[48:49]
	s_mov_b32 s39, 0x3fedd6d0
	s_mov_b32 s24, 0x5d8e7cdc
	v_mul_f64 v[102:103], v[122:123], s[34:35]
	v_add_f64 v[112:113], v[58:59], -v[66:67]
	s_mov_b32 s37, 0x3fc7851a
	s_mov_b32 s45, 0xbfc7851a
	;; [unrolled: 1-line block ×4, first 2 shown]
	v_add_f64 v[114:115], v[52:53], v[36:37]
	s_mov_b32 s27, 0xbfeb34fa
	s_mov_b32 s28, 0x4363dd80
	v_mul_f64 v[94:95], v[116:117], s[38:39]
	v_add_f64 v[110:111], v[50:51], -v[62:63]
	s_mov_b32 s25, 0xbfd71e95
	v_fma_f64 v[108:109], s[36:37], v[112:113], v[102:103]
	s_mov_b32 s53, 0x3fd71e95
	s_mov_b32 s52, s24
	v_fmac_f64_e32 v[102:103], s[44:45], v[112:113]
	s_mov_b32 s16, 0x6ed5f1bb
	v_add_f64 v[92:93], v[44:45], v[28:29]
	s_mov_b32 s31, 0x3fe7a5f6
	s_mov_b32 s22, 0x2a9d6da3
	v_mul_f64 v[78:79], v[114:115], s[26:27]
	v_add_f64 v[106:107], v[38:39], -v[54:55]
	s_mov_b32 s29, 0x3fe0d888
	v_fma_f64 v[68:69], s[24:25], v[110:111], v[94:95]
	v_add_f64 v[108:109], v[40:41], v[108:109]
	v_fmac_f64_e32 v[94:95], s[52:53], v[110:111]
	v_add_f64 v[102:103], v[40:41], v[102:103]
	s_mov_b32 s47, 0xbfe0d888
	s_mov_b32 s46, s28
	;; [unrolled: 1-line block ×3, first 2 shown]
	v_add_f64 v[90:91], v[32:33], v[20:21]
	s_mov_b32 s17, 0xbfe348c8
	s_mov_b32 s18, 0x6c9a05f6
	v_mul_f64 v[76:77], v[92:93], s[30:31]
	v_add_f64 v[104:105], v[30:31], -v[46:47]
	s_mov_b32 s23, 0xbfe58eea
	v_add_f64 v[68:69], v[68:69], v[108:109]
	v_fma_f64 v[108:109], s[28:29], v[106:107], v[78:79]
	v_add_f64 v[94:95], v[94:95], v[102:103]
	v_fmac_f64_e32 v[78:79], s[46:47], v[106:107]
	s_mov_b32 s59, 0x3fe58eea
	s_mov_b32 s58, s22
	;; [unrolled: 1-line block ×3, first 2 shown]
	v_add_f64 v[88:89], v[24:25], v[16:17]
	s_mov_b32 s21, 0x3fdc86fa
	s_mov_b32 s4, 0x7c9e640b
	v_mul_f64 v[74:75], v[90:91], s[16:17]
	v_add_f64 v[86:87], v[22:23], -v[34:35]
	s_mov_b32 s19, 0x3fe9895b
	v_add_f64 v[68:69], v[108:109], v[68:69]
	v_fma_f64 v[108:109], s[22:23], v[104:105], v[76:77]
	v_add_f64 v[78:79], v[78:79], v[94:95]
	s_mov_b32 s51, 0xbfe9895b
	s_mov_b32 s50, s18
	v_fmac_f64_e32 v[76:77], s[58:59], v[104:105]
	v_add_f64 v[82:83], v[12:13], v[8:9]
	s_mov_b32 s13, 0xbfd183b1
	s_mov_b32 s14, 0x923c349f
	v_mul_f64 v[72:73], v[88:89], s[20:21]
	v_add_f64 v[84:85], v[18:19], -v[26:27]
	s_mov_b32 s5, 0xbfeca52d
	v_add_f64 v[68:69], v[108:109], v[68:69]
	v_fma_f64 v[108:109], s[18:19], v[86:87], v[74:75]
	s_mov_b32 s57, 0x3feca52d
	s_mov_b32 s56, s4
	v_fmac_f64_e32 v[74:75], s[50:51], v[86:87]
	v_add_f64 v[76:77], v[76:77], v[78:79]
	v_mul_f64 v[70:71], v[82:83], s[12:13]
	v_add_f64 v[80:81], v[10:11], -v[14:15]
	s_mov_b32 s15, 0x3feec746
	v_add_f64 v[68:69], v[108:109], v[68:69]
	v_fma_f64 v[108:109], s[4:5], v[84:85], v[72:73]
	s_mov_b32 s42, 0x3259b75e
	s_mov_b32 s49, 0xbfeec746
	;; [unrolled: 1-line block ×3, first 2 shown]
	v_fmac_f64_e32 v[72:73], s[56:57], v[84:85]
	v_add_f64 v[74:75], v[74:75], v[76:77]
	v_mul_f64 v[78:79], v[122:123], s[26:27]
	v_add_f64 v[68:69], v[108:109], v[68:69]
	v_fma_f64 v[108:109], s[14:15], v[80:81], v[70:71]
	s_mov_b32 s43, 0x3fb79ee6
	s_mov_b32 s40, 0xeb564b22
	v_fmac_f64_e32 v[70:71], s[48:49], v[80:81]
	v_add_f64 v[72:73], v[72:73], v[74:75]
	v_mul_f64 v[76:77], v[116:117], s[20:21]
	v_fma_f64 v[94:95], s[28:29], v[112:113], v[78:79]
	s_mov_b32 s41, 0xbfefdd0d
	s_mov_b32 s55, 0x3fefdd0d
	;; [unrolled: 1-line block ×3, first 2 shown]
	v_add_f64 v[70:71], v[70:71], v[72:73]
	v_mul_f64 v[74:75], v[114:115], s[42:43]
	v_fma_f64 v[72:73], s[4:5], v[110:111], v[76:77]
	v_add_f64 v[94:95], v[40:41], v[94:95]
	v_add_f64 v[72:73], v[72:73], v[94:95]
	v_fma_f64 v[94:95], s[54:55], v[106:107], v[74:75]
	v_add_f64 v[118:119], v[4:5], v[0:1]
	v_add_f64 v[72:73], v[94:95], v[72:73]
	v_mul_f64 v[94:95], v[92:93], s[16:17]
	v_add_f64 v[68:69], v[108:109], v[68:69]
	v_mul_f64 v[108:109], v[118:119], s[42:43]
	v_add_f64 v[120:121], v[2:3], -v[6:7]
	v_fma_f64 v[102:103], s[50:51], v[104:105], v[94:95]
	v_fma_f64 v[124:125], s[40:41], v[120:121], v[108:109]
	v_fmac_f64_e32 v[108:109], s[54:55], v[120:121]
	v_add_f64 v[72:73], v[102:103], v[72:73]
	v_mul_f64 v[102:103], v[90:91], s[38:39]
	v_fmac_f64_e32 v[78:79], s[46:47], v[112:113]
	v_add_f64 v[70:71], v[108:109], v[70:71]
	v_fma_f64 v[108:109], s[52:53], v[86:87], v[102:103]
	v_fmac_f64_e32 v[76:77], s[56:57], v[110:111]
	v_add_f64 v[78:79], v[40:41], v[78:79]
	v_add_f64 v[72:73], v[108:109], v[72:73]
	v_mul_f64 v[108:109], v[88:89], s[34:35]
	v_add_f64 v[76:77], v[76:77], v[78:79]
	v_fmac_f64_e32 v[74:75], s[40:41], v[106:107]
	v_add_f64 v[68:69], v[124:125], v[68:69]
	v_fma_f64 v[124:125], s[36:37], v[84:85], v[108:109]
	v_add_f64 v[74:75], v[74:75], v[76:77]
	v_fmac_f64_e32 v[94:95], s[18:19], v[104:105]
	v_add_f64 v[72:73], v[124:125], v[72:73]
	v_mul_f64 v[124:125], v[82:83], s[30:31]
	v_add_f64 v[74:75], v[94:95], v[74:75]
	v_fmac_f64_e32 v[102:103], s[24:25], v[86:87]
	v_fma_f64 v[126:127], s[22:23], v[80:81], v[124:125]
	v_add_f64 v[74:75], v[102:103], v[74:75]
	v_fmac_f64_e32 v[108:109], s[44:45], v[84:85]
	v_add_f64 v[72:73], v[126:127], v[72:73]
	v_mul_f64 v[126:127], v[118:119], s[12:13]
	v_fmac_f64_e32 v[124:125], s[58:59], v[80:81]
	v_add_f64 v[74:75], v[108:109], v[74:75]
	v_fma_f64 v[128:129], s[14:15], v[120:121], v[126:127]
	v_fmac_f64_e32 v[126:127], s[48:49], v[120:121]
	v_add_f64 v[74:75], v[124:125], v[74:75]
	v_mul_f64 v[94:95], v[122:123], s[16:17]
	v_add_f64 v[76:77], v[126:127], v[74:75]
	v_mul_f64 v[78:79], v[116:117], s[12:13]
	v_fma_f64 v[74:75], s[18:19], v[112:113], v[94:95]
	v_add_f64 v[74:75], v[40:41], v[74:75]
	v_fma_f64 v[102:103], s[48:49], v[110:111], v[78:79]
	v_add_f64 v[74:75], v[102:103], v[74:75]
	v_mul_f64 v[102:103], v[114:115], s[38:39]
	v_fma_f64 v[108:109], s[52:53], v[106:107], v[102:103]
	v_add_f64 v[74:75], v[108:109], v[74:75]
	v_mul_f64 v[108:109], v[92:93], s[26:27]
	v_fma_f64 v[124:125], s[28:29], v[104:105], v[108:109]
	v_add_f64 v[74:75], v[124:125], v[74:75]
	v_mul_f64 v[124:125], v[90:91], s[42:43]
	v_fmac_f64_e32 v[94:95], s[50:51], v[112:113]
	v_fma_f64 v[126:127], s[40:41], v[86:87], v[124:125]
	v_fmac_f64_e32 v[78:79], s[14:15], v[110:111]
	v_add_f64 v[94:95], v[40:41], v[94:95]
	v_add_f64 v[74:75], v[126:127], v[74:75]
	v_mul_f64 v[126:127], v[88:89], s[30:31]
	v_add_f64 v[78:79], v[78:79], v[94:95]
	v_fmac_f64_e32 v[102:103], s[24:25], v[106:107]
	v_add_f64 v[72:73], v[128:129], v[72:73]
	v_fma_f64 v[128:129], s[58:59], v[84:85], v[126:127]
	v_add_f64 v[78:79], v[102:103], v[78:79]
	v_fmac_f64_e32 v[108:109], s[46:47], v[104:105]
	v_add_f64 v[74:75], v[128:129], v[74:75]
	v_mul_f64 v[128:129], v[82:83], s[34:35]
	v_add_f64 v[78:79], v[108:109], v[78:79]
	v_fmac_f64_e32 v[124:125], s[54:55], v[86:87]
	v_fma_f64 v[130:131], s[36:37], v[80:81], v[128:129]
	v_add_f64 v[78:79], v[124:125], v[78:79]
	v_fmac_f64_e32 v[126:127], s[22:23], v[84:85]
	v_add_f64 v[74:75], v[130:131], v[74:75]
	v_mul_f64 v[130:131], v[118:119], s[20:21]
	v_add_f64 v[78:79], v[126:127], v[78:79]
	v_fmac_f64_e32 v[128:129], s[44:45], v[80:81]
	v_fma_f64 v[132:133], s[4:5], v[120:121], v[130:131]
	v_add_f64 v[78:79], v[128:129], v[78:79]
	v_fmac_f64_e32 v[130:131], s[56:57], v[120:121]
	v_mul_f64 v[102:103], v[122:123], s[12:13]
	v_add_f64 v[94:95], v[130:131], v[78:79]
	v_fma_f64 v[78:79], s[14:15], v[112:113], v[102:103]
	v_mul_f64 v[108:109], v[116:117], s[26:27]
	v_add_f64 v[78:79], v[40:41], v[78:79]
	v_fma_f64 v[124:125], s[46:47], v[110:111], v[108:109]
	v_add_f64 v[78:79], v[124:125], v[78:79]
	v_mul_f64 v[124:125], v[114:115], s[30:31]
	v_fma_f64 v[126:127], s[22:23], v[106:107], v[124:125]
	v_add_f64 v[78:79], v[126:127], v[78:79]
	v_mul_f64 v[126:127], v[92:93], s[20:21]
	v_fma_f64 v[128:129], s[56:57], v[104:105], v[126:127]
	v_add_f64 v[78:79], v[128:129], v[78:79]
	v_mul_f64 v[128:129], v[90:91], s[34:35]
	v_fmac_f64_e32 v[102:103], s[48:49], v[112:113]
	v_fma_f64 v[130:131], s[36:37], v[86:87], v[128:129]
	v_fmac_f64_e32 v[108:109], s[28:29], v[110:111]
	v_add_f64 v[102:103], v[40:41], v[102:103]
	v_add_f64 v[78:79], v[130:131], v[78:79]
	v_mul_f64 v[130:131], v[88:89], s[42:43]
	v_add_f64 v[102:103], v[108:109], v[102:103]
	v_fmac_f64_e32 v[124:125], s[58:59], v[106:107]
	v_add_f64 v[74:75], v[132:133], v[74:75]
	v_fma_f64 v[132:133], s[40:41], v[84:85], v[130:131]
	v_add_f64 v[102:103], v[124:125], v[102:103]
	v_fmac_f64_e32 v[126:127], s[4:5], v[104:105]
	v_add_f64 v[78:79], v[132:133], v[78:79]
	v_mul_f64 v[132:133], v[82:83], s[38:39]
	v_add_f64 v[102:103], v[126:127], v[102:103]
	v_fmac_f64_e32 v[128:129], s[44:45], v[86:87]
	v_fma_f64 v[134:135], s[52:53], v[80:81], v[132:133]
	v_add_f64 v[102:103], v[128:129], v[102:103]
	v_fmac_f64_e32 v[130:131], s[54:55], v[84:85]
	v_add_f64 v[78:79], v[134:135], v[78:79]
	v_mul_f64 v[134:135], v[118:119], s[16:17]
	v_add_f64 v[102:103], v[130:131], v[102:103]
	v_fmac_f64_e32 v[132:133], s[24:25], v[80:81]
	v_fma_f64 v[136:137], s[18:19], v[120:121], v[134:135]
	v_add_f64 v[102:103], v[132:133], v[102:103]
	v_fmac_f64_e32 v[134:135], s[50:51], v[120:121]
	v_mul_f64 v[108:109], v[122:123], s[42:43]
	v_add_f64 v[126:127], v[134:135], v[102:103]
	v_fma_f64 v[102:103], s[54:55], v[112:113], v[108:109]
	v_mul_f64 v[124:125], v[116:117], s[34:35]
	;; [unrolled: 40-line block ×4, first 2 shown]
	v_add_f64 v[124:125], v[40:41], v[124:125]
	v_fma_f64 v[136:137], s[54:55], v[110:111], v[134:135]
	v_add_f64 v[124:125], v[136:137], v[124:125]
	v_mul_f64 v[136:137], v[114:115], s[16:17]
	v_fmac_f64_e32 v[132:133], s[22:23], v[112:113]
	v_fma_f64 v[138:139], s[18:19], v[106:107], v[136:137]
	v_fmac_f64_e32 v[134:135], s[40:41], v[110:111]
	v_add_f64 v[132:133], v[40:41], v[132:133]
	v_mul_f64 v[122:123], v[122:123], s[38:39]
	v_add_f64 v[124:125], v[138:139], v[124:125]
	v_mul_f64 v[138:139], v[92:93], s[34:35]
	v_add_f64 v[132:133], v[134:135], v[132:133]
	v_fmac_f64_e32 v[136:137], s[50:51], v[106:107]
	v_mul_f64 v[116:117], v[116:117], s[30:31]
	v_fma_f64 v[134:135], s[52:53], v[112:113], v[122:123]
	v_fma_f64 v[140:141], s[36:37], v[104:105], v[138:139]
	v_add_f64 v[132:133], v[136:137], v[132:133]
	v_add_f64 v[134:135], v[40:41], v[134:135]
	v_fma_f64 v[136:137], s[58:59], v[110:111], v[116:117]
	v_mul_f64 v[114:115], v[114:115], s[20:21]
	v_add_f64 v[124:125], v[140:141], v[124:125]
	v_mul_f64 v[140:141], v[90:91], s[26:27]
	v_add_f64 v[134:135], v[136:137], v[134:135]
	v_fma_f64 v[136:137], s[56:57], v[106:107], v[114:115]
	v_mul_f64 v[92:93], v[92:93], s[42:43]
	v_fma_f64 v[142:143], s[46:47], v[86:87], v[140:141]
	v_add_f64 v[134:135], v[136:137], v[134:135]
	v_fma_f64 v[136:137], s[54:55], v[104:105], v[92:93]
	v_mul_f64 v[90:91], v[90:91], s[12:13]
	v_add_f64 v[124:125], v[142:143], v[124:125]
	v_mul_f64 v[142:143], v[88:89], s[12:13]
	v_add_f64 v[134:135], v[136:137], v[134:135]
	v_fma_f64 v[136:137], s[14:15], v[86:87], v[90:91]
	v_mul_f64 v[88:89], v[88:89], s[16:17]
	v_add_f64 v[108:109], v[144:145], v[108:109]
	v_fma_f64 v[144:145], s[48:49], v[84:85], v[142:143]
	v_add_f64 v[134:135], v[136:137], v[134:135]
	v_fma_f64 v[136:137], s[18:19], v[84:85], v[88:89]
	v_add_f64 v[124:125], v[144:145], v[124:125]
	v_mul_f64 v[144:145], v[82:83], s[20:21]
	v_add_f64 v[134:135], v[136:137], v[134:135]
	v_mul_f64 v[136:137], v[82:83], s[26:27]
	v_fmac_f64_e32 v[122:123], s[24:25], v[112:113]
	v_fma_f64 v[146:147], s[4:5], v[80:81], v[144:145]
	v_fmac_f64_e32 v[144:145], s[56:57], v[80:81]
	v_fma_f64 v[82:83], s[28:29], v[80:81], v[136:137]
	v_fmac_f64_e32 v[136:137], s[46:47], v[80:81]
	v_add_f64 v[80:81], v[40:41], v[122:123]
	v_add_f64 v[40:41], v[56:57], v[40:41]
	;; [unrolled: 1-line block ×9, first 2 shown]
	v_fmac_f64_e32 v[116:117], s[22:23], v[110:111]
	v_add_f64 v[40:41], v[4:5], v[40:41]
	v_fmac_f64_e32 v[114:115], s[4:5], v[106:107]
	v_add_f64 v[80:81], v[116:117], v[80:81]
	v_add_f64 v[40:41], v[12:13], v[40:41]
	v_fmac_f64_e32 v[92:93], s[40:41], v[104:105]
	v_add_f64 v[80:81], v[114:115], v[80:81]
	v_add_f64 v[40:41], v[24:25], v[40:41]
	v_fmac_f64_e32 v[138:139], s[44:45], v[104:105]
	v_fmac_f64_e32 v[90:91], s[48:49], v[86:87]
	v_add_f64 v[80:81], v[92:93], v[80:81]
	v_add_f64 v[40:41], v[32:33], v[40:41]
	;; [unrolled: 1-line block ×3, first 2 shown]
	v_fmac_f64_e32 v[140:141], s[28:29], v[86:87]
	v_fmac_f64_e32 v[88:89], s[50:51], v[84:85]
	v_add_f64 v[80:81], v[90:91], v[80:81]
	v_add_f64 v[40:41], v[44:45], v[40:41]
	v_add_f64 v[124:125], v[146:147], v[124:125]
	v_mul_f64 v[146:147], v[118:119], s[38:39]
	v_add_f64 v[132:133], v[140:141], v[132:133]
	v_fmac_f64_e32 v[142:143], s[14:15], v[84:85]
	v_mul_f64 v[118:119], v[118:119], s[34:35]
	v_add_f64 v[80:81], v[88:89], v[80:81]
	v_add_f64 v[40:41], v[52:53], v[40:41]
	;; [unrolled: 1-line block ×4, first 2 shown]
	v_fma_f64 v[134:135], s[36:37], v[120:121], v[118:119]
	v_fmac_f64_e32 v[118:119], s[44:45], v[120:121]
	v_add_f64 v[80:81], v[136:137], v[80:81]
	v_add_f64 v[40:41], v[60:61], v[40:41]
	v_mul_u32_u24_e32 v84, 0x88, v98
	v_fma_f64 v[148:149], s[24:25], v[120:121], v[146:147]
	v_add_f64 v[132:133], v[144:145], v[132:133]
	v_fmac_f64_e32 v[146:147], s[52:53], v[120:121]
	v_add_f64 v[80:81], v[118:119], v[80:81]
	v_add_f64 v[40:41], v[64:65], v[40:41]
	v_add3_u32 v84, 0, v84, v99
	v_add_f64 v[124:125], v[148:149], v[124:125]
	v_add_f64 v[132:133], v[146:147], v[132:133]
	;; [unrolled: 1-line block ×3, first 2 shown]
	ds_write2_b64 v84, v[40:41], v[80:81] offset1:1
	ds_write2_b64 v84, v[132:133], v[130:131] offset0:2 offset1:3
	ds_write2_b64 v84, v[128:129], v[126:127] offset0:4 offset1:5
	;; [unrolled: 1-line block ×7, first 2 shown]
	ds_write_b64 v84, v[82:83] offset:128
.LBB0_12:
	s_or_b64 exec, exec, s[2:3]
	v_lshlrev_b32_e32 v68, 3, v98
	v_add_u32_e32 v109, 0, v68
	v_add_u32_e32 v105, v109, v99
	v_add3_u32 v104, 0, v99, v68
	v_add_u32_e32 v108, 0x400, v105
	v_add_u32_e32 v106, 0x800, v105
	;; [unrolled: 1-line block ×3, first 2 shown]
	s_waitcnt lgkmcnt(0)
	s_barrier
	s_waitcnt vmcnt(16)
	ds_read_b64 v[40:41], v104
	ds_read2_b64 v[92:95], v108 offset0:127 offset1:178
	ds_read2_b64 v[76:79], v106 offset0:203 offset1:254
	ds_read2_b64 v[72:75], v105 offset0:51 offset1:102
	ds_read2_b64 v[88:91], v107 offset0:49 offset1:100
	ds_read2_b64 v[84:87], v106 offset0:101 offset1:152
	ds_read2_b64 v[68:71], v105 offset0:153 offset1:204
	ds_read2_b64 v[80:83], v107 offset0:151 offset1:202
	s_waitcnt lgkmcnt(0)
	s_barrier
	s_and_saveexec_b64 s[2:3], s[0:1]
	s_cbranch_execz .LBB0_14
; %bb.13:
	s_waitcnt vmcnt(15)
	v_add_f64 v[102:103], v[58:59], v[42:43]
	s_waitcnt vmcnt(14)
	v_add_f64 v[102:103], v[50:51], v[102:103]
	;; [unrolled: 2-line block ×13, first 2 shown]
	s_mov_b32 s20, 0x5d8e7cdc
	s_mov_b32 s30, 0x2a9d6da3
	;; [unrolled: 1-line block ×8, first 2 shown]
	s_waitcnt vmcnt(2)
	v_add_f64 v[102:103], v[54:55], v[102:103]
	s_waitcnt vmcnt(0)
	v_add_f64 v[56:57], v[56:57], -v[64:65]
	s_mov_b32 s21, 0xbfd71e95
	s_mov_b32 s14, 0x370991
	;; [unrolled: 1-line block ×16, first 2 shown]
	v_add_f64 v[102:103], v[62:63], v[102:103]
	v_add_f64 v[58:59], v[66:67], v[58:59]
	v_mul_f64 v[64:65], v[56:57], s[20:21]
	s_mov_b32 s15, 0x3fedd6d0
	v_mul_f64 v[110:111], v[56:57], s[30:31]
	s_mov_b32 s13, 0x3fe7a5f6
	;; [unrolled: 2-line block ×8, first 2 shown]
	v_add_f64 v[102:103], v[66:67], v[102:103]
	v_fma_f64 v[66:67], v[58:59], s[14:15], -v[64:65]
	v_fmac_f64_e32 v[64:65], s[14:15], v[58:59]
	v_fma_f64 v[112:113], v[58:59], s[12:13], -v[110:111]
	v_fmac_f64_e32 v[110:111], s[12:13], v[58:59]
	;; [unrolled: 2-line block ×8, first 2 shown]
	v_add_f64 v[48:49], v[48:49], -v[60:61]
	v_add_f64 v[66:67], v[42:43], v[66:67]
	v_add_f64 v[64:65], v[42:43], v[64:65]
	;; [unrolled: 1-line block ×17, first 2 shown]
	v_mul_f64 v[56:57], v[48:49], s[30:31]
	v_fma_f64 v[58:59], v[50:51], s[12:13], -v[56:57]
	v_fmac_f64_e32 v[56:57], s[12:13], v[50:51]
	v_mul_f64 v[60:61], v[48:49], s[34:35]
	v_add_f64 v[56:57], v[56:57], v[64:65]
	v_fma_f64 v[62:63], v[50:51], s[0:1], -v[60:61]
	v_fmac_f64_e32 v[60:61], s[0:1], v[50:51]
	v_mul_f64 v[64:65], v[48:49], s[22:23]
	v_add_f64 v[58:59], v[58:59], v[66:67]
	v_add_f64 v[60:61], v[60:61], v[110:111]
	v_fma_f64 v[66:67], v[50:51], s[24:25], -v[64:65]
	v_fmac_f64_e32 v[64:65], s[24:25], v[50:51]
	v_mul_f64 v[110:111], v[48:49], s[36:37]
	s_mov_b32 s51, 0x3fe0d888
	s_mov_b32 s50, s26
	v_add_f64 v[62:63], v[62:63], v[112:113]
	v_add_f64 v[64:65], v[64:65], v[114:115]
	v_fma_f64 v[112:113], v[50:51], s[38:39], -v[110:111]
	v_fmac_f64_e32 v[110:111], s[38:39], v[50:51]
	v_mul_f64 v[114:115], v[48:49], s[50:51]
	s_mov_b32 s49, 0x3feec746
	s_mov_b32 s48, s16
	;; [unrolled: 7-line block ×3, first 2 shown]
	s_mov_b32 s45, 0x3fd71e95
	s_mov_b32 s44, s20
	v_add_f64 v[112:113], v[112:113], v[120:121]
	v_add_f64 v[114:115], v[114:115], v[122:123]
	v_fma_f64 v[120:121], v[50:51], s[18:19], -v[118:119]
	v_fmac_f64_e32 v[118:119], s[18:19], v[50:51]
	v_mul_f64 v[122:123], v[48:49], s[40:41]
	v_mul_f64 v[48:49], v[48:49], s[44:45]
	v_add_f64 v[118:119], v[118:119], v[126:127]
	v_fma_f64 v[126:127], v[50:51], s[14:15], -v[48:49]
	v_fmac_f64_e32 v[48:49], s[14:15], v[50:51]
	v_add_f64 v[36:37], v[36:37], -v[52:53]
	v_add_f64 v[42:43], v[48:49], v[42:43]
	v_add_f64 v[38:39], v[54:55], v[38:39]
	v_mul_f64 v[48:49], v[36:37], s[42:43]
	v_add_f64 v[116:117], v[116:117], v[124:125]
	v_fma_f64 v[124:125], v[50:51], s[4:5], -v[122:123]
	v_fmac_f64_e32 v[122:123], s[4:5], v[50:51]
	v_fma_f64 v[50:51], v[38:39], s[4:5], -v[48:49]
	v_fmac_f64_e32 v[48:49], s[4:5], v[38:39]
	v_mul_f64 v[52:53], v[36:37], s[22:23]
	s_mov_b32 s47, 0x3fc7851a
	s_mov_b32 s46, s36
	v_add_f64 v[48:49], v[48:49], v[56:57]
	v_fma_f64 v[54:55], v[38:39], s[24:25], -v[52:53]
	v_fmac_f64_e32 v[52:53], s[24:25], v[38:39]
	v_mul_f64 v[56:57], v[36:37], s[46:47]
	v_add_f64 v[50:51], v[50:51], v[58:59]
	v_add_f64 v[52:53], v[52:53], v[60:61]
	v_fma_f64 v[58:59], v[38:39], s[38:39], -v[56:57]
	v_fmac_f64_e32 v[56:57], s[38:39], v[38:39]
	v_mul_f64 v[60:61], v[36:37], s[48:49]
	s_mov_b32 s47, 0x3fe58eea
	s_mov_b32 s46, s30
	v_add_f64 v[54:55], v[54:55], v[62:63]
	v_add_f64 v[56:57], v[56:57], v[64:65]
	v_fma_f64 v[62:63], v[38:39], s[18:19], -v[60:61]
	v_fmac_f64_e32 v[60:61], s[18:19], v[38:39]
	v_mul_f64 v[64:65], v[36:37], s[46:47]
	v_add_f64 v[58:59], v[58:59], v[66:67]
	v_add_f64 v[60:61], v[60:61], v[110:111]
	v_fma_f64 v[66:67], v[38:39], s[12:13], -v[64:65]
	v_fmac_f64_e32 v[64:65], s[12:13], v[38:39]
	v_mul_f64 v[110:111], v[36:37], s[20:21]
	;; [unrolled: 5-line block ×3, first 2 shown]
	v_mul_f64 v[36:37], v[36:37], s[26:27]
	v_add_f64 v[28:29], v[28:29], -v[44:45]
	v_add_f64 v[66:67], v[66:67], v[116:117]
	v_add_f64 v[110:111], v[110:111], v[118:119]
	v_fma_f64 v[116:117], v[38:39], s[0:1], -v[114:115]
	v_fmac_f64_e32 v[114:115], s[0:1], v[38:39]
	v_fma_f64 v[118:119], v[38:39], s[28:29], -v[36:37]
	v_fmac_f64_e32 v[36:37], s[28:29], v[38:39]
	v_add_f64 v[30:31], v[46:47], v[30:31]
	v_mul_f64 v[38:39], v[28:29], s[34:35]
	v_add_f64 v[36:37], v[36:37], v[42:43]
	v_fma_f64 v[42:43], v[30:31], s[0:1], -v[38:39]
	v_fmac_f64_e32 v[38:39], s[0:1], v[30:31]
	v_mul_f64 v[44:45], v[28:29], s[36:37]
	v_add_f64 v[38:39], v[38:39], v[48:49]
	v_fma_f64 v[46:47], v[30:31], s[38:39], -v[44:45]
	v_fmac_f64_e32 v[44:45], s[38:39], v[30:31]
	v_mul_f64 v[48:49], v[28:29], s[48:49]
	v_add_f64 v[42:43], v[42:43], v[50:51]
	v_add_f64 v[44:45], v[44:45], v[52:53]
	v_fma_f64 v[50:51], v[30:31], s[18:19], -v[48:49]
	v_fmac_f64_e32 v[48:49], s[18:19], v[30:31]
	v_mul_f64 v[52:53], v[28:29], s[44:45]
	v_add_f64 v[46:47], v[46:47], v[54:55]
	v_add_f64 v[48:49], v[48:49], v[56:57]
	v_fma_f64 v[54:55], v[30:31], s[14:15], -v[52:53]
	v_fmac_f64_e32 v[52:53], s[14:15], v[30:31]
	v_mul_f64 v[56:57], v[28:29], s[42:43]
	v_add_f64 v[50:51], v[50:51], v[58:59]
	v_add_f64 v[52:53], v[52:53], v[60:61]
	v_fma_f64 v[58:59], v[30:31], s[4:5], -v[56:57]
	v_fmac_f64_e32 v[56:57], s[4:5], v[30:31]
	v_mul_f64 v[60:61], v[28:29], s[26:27]
	s_mov_b32 s53, 0x3fe9895b
	s_mov_b32 s52, s22
	v_add_f64 v[54:55], v[54:55], v[62:63]
	v_add_f64 v[56:57], v[56:57], v[64:65]
	v_fma_f64 v[62:63], v[30:31], s[28:29], -v[60:61]
	v_fmac_f64_e32 v[60:61], s[28:29], v[30:31]
	v_mul_f64 v[64:65], v[28:29], s[52:53]
	v_mul_f64 v[28:29], v[28:29], s[46:47]
	v_add_f64 v[20:21], v[20:21], -v[32:33]
	v_add_f64 v[58:59], v[58:59], v[66:67]
	v_add_f64 v[60:61], v[60:61], v[110:111]
	v_fma_f64 v[66:67], v[30:31], s[24:25], -v[64:65]
	v_fmac_f64_e32 v[64:65], s[24:25], v[30:31]
	v_fma_f64 v[110:111], v[30:31], s[12:13], -v[28:29]
	v_fmac_f64_e32 v[28:29], s[12:13], v[30:31]
	v_add_f64 v[22:23], v[34:35], v[22:23]
	v_mul_f64 v[30:31], v[20:21], s[16:17]
	v_fma_f64 v[32:33], v[22:23], s[18:19], -v[30:31]
	v_fmac_f64_e32 v[30:31], s[18:19], v[22:23]
	v_mul_f64 v[34:35], v[20:21], s[50:51]
	v_add_f64 v[28:29], v[28:29], v[36:37]
	v_add_f64 v[30:31], v[30:31], v[38:39]
	v_fma_f64 v[36:37], v[22:23], s[28:29], -v[34:35]
	v_fmac_f64_e32 v[34:35], s[28:29], v[22:23]
	v_mul_f64 v[38:39], v[20:21], s[46:47]
	v_add_f64 v[32:33], v[32:33], v[42:43]
	v_add_f64 v[34:35], v[34:35], v[44:45]
	;; [unrolled: 5-line block ×3, first 2 shown]
	v_fma_f64 v[46:47], v[22:23], s[4:5], -v[44:45]
	v_fmac_f64_e32 v[44:45], s[4:5], v[22:23]
	v_mul_f64 v[48:49], v[20:21], s[36:37]
	s_mov_b32 s43, 0x3fefdd0d
	s_mov_b32 s42, s34
	v_add_f64 v[42:43], v[42:43], v[50:51]
	v_add_f64 v[44:45], v[44:45], v[52:53]
	v_fma_f64 v[50:51], v[22:23], s[38:39], -v[48:49]
	v_fmac_f64_e32 v[48:49], s[38:39], v[22:23]
	v_mul_f64 v[52:53], v[20:21], s[42:43]
	v_add_f64 v[46:47], v[46:47], v[54:55]
	v_add_f64 v[48:49], v[48:49], v[56:57]
	v_fma_f64 v[54:55], v[22:23], s[0:1], -v[52:53]
	v_fmac_f64_e32 v[52:53], s[0:1], v[22:23]
	v_mul_f64 v[56:57], v[20:21], s[20:21]
	v_mul_f64 v[20:21], v[20:21], s[22:23]
	v_add_f64 v[16:17], v[16:17], -v[24:25]
	v_add_f64 v[50:51], v[50:51], v[58:59]
	v_add_f64 v[52:53], v[52:53], v[60:61]
	v_fma_f64 v[58:59], v[22:23], s[14:15], -v[56:57]
	v_fmac_f64_e32 v[56:57], s[14:15], v[22:23]
	v_fma_f64 v[60:61], v[22:23], s[24:25], -v[20:21]
	v_fmac_f64_e32 v[20:21], s[24:25], v[22:23]
	v_add_f64 v[18:19], v[26:27], v[18:19]
	v_mul_f64 v[22:23], v[16:17], s[22:23]
	v_fma_f64 v[24:25], v[18:19], s[24:25], -v[22:23]
	v_fmac_f64_e32 v[22:23], s[24:25], v[18:19]
	v_mul_f64 v[26:27], v[16:17], s[48:49]
	v_add_f64 v[20:21], v[20:21], v[28:29]
	v_add_f64 v[22:23], v[22:23], v[30:31]
	v_fma_f64 v[28:29], v[18:19], s[18:19], -v[26:27]
	v_fmac_f64_e32 v[26:27], s[18:19], v[18:19]
	v_mul_f64 v[30:31], v[16:17], s[20:21]
	v_add_f64 v[24:25], v[24:25], v[32:33]
	v_add_f64 v[26:27], v[26:27], v[34:35]
	;; [unrolled: 5-line block ×4, first 2 shown]
	v_fma_f64 v[42:43], v[18:19], s[0:1], -v[38:39]
	v_fmac_f64_e32 v[38:39], s[0:1], v[18:19]
	v_mul_f64 v[44:45], v[16:17], s[30:31]
	v_add_f64 v[8:9], v[8:9], -v[12:13]
	v_add_f64 v[36:37], v[36:37], v[46:47]
	v_add_f64 v[38:39], v[38:39], v[48:49]
	v_fma_f64 v[46:47], v[18:19], s[12:13], -v[44:45]
	v_fmac_f64_e32 v[44:45], s[12:13], v[18:19]
	v_mul_f64 v[48:49], v[16:17], s[36:37]
	v_mul_f64 v[16:17], v[16:17], s[40:41]
	v_add_f64 v[10:11], v[14:15], v[10:11]
	v_mul_f64 v[12:13], v[8:9], s[26:27]
	v_add_f64 v[42:43], v[42:43], v[50:51]
	v_add_f64 v[44:45], v[44:45], v[52:53]
	v_fma_f64 v[50:51], v[18:19], s[38:39], -v[48:49]
	v_fmac_f64_e32 v[48:49], s[38:39], v[18:19]
	v_fma_f64 v[52:53], v[18:19], s[4:5], -v[16:17]
	v_fmac_f64_e32 v[16:17], s[4:5], v[18:19]
	;; [unrolled: 2-line block ×3, first 2 shown]
	v_mul_f64 v[18:19], v[8:9], s[40:41]
	v_add_f64 v[16:17], v[16:17], v[20:21]
	v_add_f64 v[12:13], v[12:13], v[22:23]
	v_fma_f64 v[20:21], v[10:11], s[4:5], -v[18:19]
	v_fmac_f64_e32 v[18:19], s[4:5], v[10:11]
	v_mul_f64 v[22:23], v[8:9], s[34:35]
	v_add_f64 v[14:15], v[14:15], v[24:25]
	v_add_f64 v[18:19], v[18:19], v[26:27]
	v_fma_f64 v[24:25], v[10:11], s[0:1], -v[22:23]
	v_fmac_f64_e32 v[22:23], s[0:1], v[10:11]
	;; [unrolled: 5-line block ×4, first 2 shown]
	v_mul_f64 v[34:35], v[8:9], s[36:37]
	v_add_f64 v[0:1], v[0:1], -v[4:5]
	v_add_f64 v[28:29], v[28:29], v[36:37]
	v_add_f64 v[30:31], v[30:31], v[38:39]
	v_fma_f64 v[36:37], v[10:11], s[38:39], -v[34:35]
	v_fmac_f64_e32 v[34:35], s[38:39], v[10:11]
	v_mul_f64 v[38:39], v[8:9], s[46:47]
	v_mul_f64 v[8:9], v[8:9], s[16:17]
	v_add_f64 v[2:3], v[6:7], v[2:3]
	v_mul_f64 v[4:5], v[0:1], s[36:37]
	v_add_f64 v[32:33], v[32:33], v[42:43]
	v_add_f64 v[34:35], v[34:35], v[44:45]
	v_fma_f64 v[42:43], v[10:11], s[12:13], -v[38:39]
	v_fmac_f64_e32 v[38:39], s[12:13], v[10:11]
	v_fma_f64 v[44:45], v[10:11], s[18:19], -v[8:9]
	v_fmac_f64_e32 v[8:9], s[18:19], v[10:11]
	;; [unrolled: 2-line block ×3, first 2 shown]
	v_mul_f64 v[10:11], v[0:1], s[44:45]
	v_add_f64 v[6:7], v[6:7], v[14:15]
	v_add_f64 v[4:5], v[4:5], v[12:13]
	v_fma_f64 v[12:13], v[2:3], s[14:15], -v[10:11]
	v_fmac_f64_e32 v[10:11], s[14:15], v[2:3]
	v_mul_f64 v[14:15], v[0:1], s[26:27]
	v_add_f64 v[120:121], v[120:121], v[128:129]
	v_add_f64 v[124:125], v[124:125], v[132:133]
	v_add_f64 v[122:123], v[122:123], v[130:131]
	v_add_f64 v[126:127], v[126:127], v[134:135]
	v_add_f64 v[8:9], v[8:9], v[16:17]
	v_add_f64 v[10:11], v[10:11], v[18:19]
	v_fma_f64 v[16:17], v[2:3], s[28:29], -v[14:15]
	v_fmac_f64_e32 v[14:15], s[28:29], v[2:3]
	v_mul_f64 v[18:19], v[0:1], s[46:47]
	v_add_f64 v[112:113], v[112:113], v[120:121]
	v_add_f64 v[116:117], v[116:117], v[124:125]
	v_add_f64 v[114:115], v[114:115], v[122:123]
	v_add_f64 v[118:119], v[118:119], v[126:127]
	v_add_f64 v[12:13], v[12:13], v[20:21]
	v_add_f64 v[14:15], v[14:15], v[22:23]
	v_fma_f64 v[20:21], v[2:3], s[12:13], -v[18:19]
	v_fmac_f64_e32 v[18:19], s[12:13], v[2:3]
	v_mul_f64 v[22:23], v[0:1], s[22:23]
	v_add_f64 v[62:63], v[62:63], v[112:113]
	v_add_f64 v[66:67], v[66:67], v[116:117]
	v_add_f64 v[64:65], v[64:65], v[114:115]
	v_add_f64 v[110:111], v[110:111], v[118:119]
	v_add_f64 v[16:17], v[16:17], v[24:25]
	v_add_f64 v[18:19], v[18:19], v[26:27]
	v_fma_f64 v[24:25], v[2:3], s[24:25], -v[22:23]
	v_fmac_f64_e32 v[22:23], s[24:25], v[2:3]
	v_mul_f64 v[26:27], v[0:1], s[40:41]
	v_add_f64 v[54:55], v[54:55], v[62:63]
	v_add_f64 v[58:59], v[58:59], v[66:67]
	v_add_f64 v[56:57], v[56:57], v[64:65]
	v_add_f64 v[60:61], v[60:61], v[110:111]
	v_add_f64 v[20:21], v[20:21], v[28:29]
	v_add_f64 v[22:23], v[22:23], v[30:31]
	v_fma_f64 v[28:29], v[2:3], s[4:5], -v[26:27]
	v_fmac_f64_e32 v[26:27], s[4:5], v[2:3]
	v_mul_f64 v[30:31], v[0:1], s[16:17]
	v_mul_f64 v[0:1], v[0:1], s[42:43]
	v_add_f64 v[46:47], v[46:47], v[54:55]
	v_add_f64 v[50:51], v[50:51], v[58:59]
	;; [unrolled: 1-line block ×6, first 2 shown]
	v_fma_f64 v[32:33], v[2:3], s[18:19], -v[30:31]
	v_fmac_f64_e32 v[30:31], s[18:19], v[2:3]
	v_fma_f64 v[34:35], v[2:3], s[0:1], -v[0:1]
	v_fmac_f64_e32 v[0:1], s[0:1], v[2:3]
	v_lshlrev_b32_e32 v2, 7, v98
	v_add_f64 v[36:37], v[36:37], v[46:47]
	v_add_f64 v[42:43], v[42:43], v[50:51]
	;; [unrolled: 1-line block ×4, first 2 shown]
	v_add3_u32 v2, v109, v2, v99
	v_add_f64 v[28:29], v[28:29], v[36:37]
	v_add_f64 v[32:33], v[32:33], v[42:43]
	v_add_f64 v[30:31], v[30:31], v[38:39]
	v_add_f64 v[34:35], v[34:35], v[44:45]
	v_add_f64 v[0:1], v[0:1], v[8:9]
	ds_write2_b64 v2, v[102:103], v[6:7] offset1:1
	ds_write2_b64 v2, v[12:13], v[16:17] offset0:2 offset1:3
	ds_write2_b64 v2, v[20:21], v[24:25] offset0:4 offset1:5
	;; [unrolled: 1-line block ×7, first 2 shown]
	ds_write_b64 v2, v[4:5] offset:128
.LBB0_14:
	s_or_b64 exec, exec, s[2:3]
	s_movk_i32 s0, 0xf1
	s_waitcnt vmcnt(8)
	v_mul_lo_u16_sdwa v0, v98, s0 dst_sel:DWORD dst_unused:UNUSED_PAD src0_sel:BYTE_0 src1_sel:DWORD
	v_lshrrev_b16_e32 v109, 12, v0
	v_mul_lo_u16_e32 v0, 17, v109
	v_sub_u16_e32 v134, v98, v0
	s_waitcnt vmcnt(4)
	v_mov_b32_e32 v32, 5
	s_waitcnt vmcnt(3)
	v_add_u32_e32 v45, 51, v98
	v_lshlrev_b32_sdwa v8, v32, v134 dst_sel:DWORD dst_unused:UNUSED_PAD src0_sel:DWORD src1_sel:BYTE_0
	s_load_dwordx2 s[4:5], s[10:11], 0x0
	s_waitcnt lgkmcnt(0)
	s_barrier
	global_load_dwordx4 v[0:3], v8, s[8:9] offset:16
	global_load_dwordx4 v[4:7], v8, s[8:9]
	v_mul_lo_u16_sdwa v8, v45, s0 dst_sel:DWORD dst_unused:UNUSED_PAD src0_sel:BYTE_0 src1_sel:DWORD
	v_lshrrev_b16_e32 v135, 12, v8
	v_mul_lo_u16_e32 v8, 17, v135
	v_sub_u16_e32 v136, v45, v8
	v_add_u32_e32 v44, 0x66, v98
	v_lshlrev_b32_sdwa v16, v32, v136 dst_sel:DWORD dst_unused:UNUSED_PAD src0_sel:DWORD src1_sel:BYTE_0
	global_load_dwordx4 v[8:11], v16, s[8:9] offset:16
	global_load_dwordx4 v[12:15], v16, s[8:9]
	v_mul_lo_u16_sdwa v16, v44, s0 dst_sel:DWORD dst_unused:UNUSED_PAD src0_sel:BYTE_0 src1_sel:DWORD
	v_lshrrev_b16_e32 v137, 12, v16
	v_mul_lo_u16_e32 v16, 17, v137
	v_sub_u16_e32 v138, v44, v16
	v_add_u32_e32 v43, 0x99, v98
	v_lshlrev_b32_sdwa v24, v32, v138 dst_sel:DWORD dst_unused:UNUSED_PAD src0_sel:DWORD src1_sel:BYTE_0
	global_load_dwordx4 v[16:19], v24, s[8:9] offset:16
	global_load_dwordx4 v[20:23], v24, s[8:9]
	v_mul_lo_u16_sdwa v24, v43, s0 dst_sel:DWORD dst_unused:UNUSED_PAD src0_sel:BYTE_0 src1_sel:DWORD
	v_lshrrev_b16_e32 v139, 12, v24
	v_mul_lo_u16_e32 v24, 17, v139
	v_sub_u16_e32 v140, v43, v24
	v_lshlrev_b32_sdwa v33, v32, v140 dst_sel:DWORD dst_unused:UNUSED_PAD src0_sel:DWORD src1_sel:BYTE_0
	v_add_u32_e32 v42, 0xcc, v98
	global_load_dwordx4 v[24:27], v33, s[8:9] offset:16
	global_load_dwordx4 v[28:31], v33, s[8:9]
	v_mul_lo_u16_sdwa v33, v42, s0 dst_sel:DWORD dst_unused:UNUSED_PAD src0_sel:BYTE_0 src1_sel:DWORD
	v_lshrrev_b16_e32 v141, 12, v33
	v_mul_lo_u16_e32 v33, 17, v141
	v_sub_u16_e32 v142, v42, v33
	v_lshlrev_b32_sdwa v46, v32, v142 dst_sel:DWORD dst_unused:UNUSED_PAD src0_sel:DWORD src1_sel:BYTE_0
	global_load_dwordx4 v[32:35], v46, s[8:9]
	global_load_dwordx4 v[36:39], v46, s[8:9] offset:16
	s_waitcnt vmcnt(10)
	ds_read_b64 v[66:67], v104
	ds_read2_b64 v[46:49], v108 offset0:127 offset1:178
	ds_read2_b64 v[50:53], v106 offset0:203 offset1:254
	;; [unrolled: 1-line block ×7, first 2 shown]
	s_mov_b32 s0, 0xe8584caa
	s_mov_b32 s1, 0xbfebb67a
	;; [unrolled: 1-line block ×4, first 2 shown]
	s_movk_i32 s10, 0x198
	s_waitcnt lgkmcnt(0)
	s_barrier
	s_mov_b32 s12, 0x134454ff
	s_mov_b32 s13, 0xbfee6f0e
	;; [unrolled: 1-line block ×7, first 2 shown]
	s_waitcnt vmcnt(9)
	v_mul_f64 v[118:119], v[52:53], v[2:3]
	s_waitcnt vmcnt(8)
	v_mul_f64 v[102:103], v[46:47], v[6:7]
	v_mul_f64 v[6:7], v[92:93], v[6:7]
	v_mul_f64 v[2:3], v[78:79], v[2:3]
	v_fmac_f64_e32 v[102:103], v[92:93], v[4:5]
	v_fmac_f64_e32 v[118:119], v[78:79], v[0:1]
	v_fma_f64 v[4:5], v[46:47], v[4:5], -v[6:7]
	s_waitcnt vmcnt(7)
	v_mul_f64 v[122:123], v[58:59], v[10:11]
	s_waitcnt vmcnt(6)
	v_mul_f64 v[120:121], v[48:49], v[14:15]
	v_mul_f64 v[14:15], v[94:95], v[14:15]
	;; [unrolled: 1-line block ×3, first 2 shown]
	v_fma_f64 v[0:1], v[52:53], v[0:1], -v[2:3]
	v_fma_f64 v[2:3], v[48:49], v[12:13], -v[14:15]
	v_fmac_f64_e32 v[122:123], v[88:89], v[8:9]
	v_fma_f64 v[6:7], v[58:59], v[8:9], -v[10:11]
	s_waitcnt vmcnt(4)
	v_mul_f64 v[124:125], v[62:63], v[22:23]
	v_mul_f64 v[22:23], v[84:85], v[22:23]
	v_fma_f64 v[8:9], v[62:63], v[20:21], -v[22:23]
	v_add_f64 v[22:23], v[40:41], v[102:103]
	v_fmac_f64_e32 v[120:121], v[94:95], v[12:13]
	v_mul_f64 v[126:127], v[60:61], v[18:19]
	s_waitcnt vmcnt(3)
	v_mul_f64 v[130:131], v[114:115], v[26:27]
	v_mul_f64 v[26:27], v[80:81], v[26:27]
	v_fmac_f64_e32 v[130:131], v[80:81], v[24:25]
	v_fma_f64 v[14:15], v[114:115], v[24:25], -v[26:27]
	v_add_f64 v[24:25], v[102:103], v[118:119]
	v_fmac_f64_e32 v[40:41], -0.5, v[24:25]
	v_add_f64 v[24:25], v[4:5], -v[0:1]
	s_waitcnt vmcnt(2)
	v_mul_f64 v[128:129], v[64:65], v[30:31]
	v_mul_f64 v[30:31], v[86:87], v[30:31]
	v_fma_f64 v[26:27], s[0:1], v[24:25], v[40:41]
	v_fmac_f64_e32 v[40:41], s[2:3], v[24:25]
	v_add_f64 v[24:25], v[66:67], v[4:5]
	v_fma_f64 v[12:13], v[64:65], v[28:29], -v[30:31]
	v_add_f64 v[30:31], v[24:25], v[0:1]
	v_add_f64 v[0:1], v[4:5], v[0:1]
	;; [unrolled: 1-line block ×3, first 2 shown]
	v_fma_f64 v[4:5], -0.5, v[4:5], v[72:73]
	v_add_f64 v[24:25], v[2:3], -v[6:7]
	v_mul_f64 v[18:19], v[90:91], v[18:19]
	v_fmac_f64_e32 v[124:125], v[84:85], v[20:21]
	v_fmac_f64_e32 v[126:127], v[90:91], v[16:17]
	;; [unrolled: 1-line block ×3, first 2 shown]
	v_fma_f64 v[28:29], s[0:1], v[24:25], v[4:5]
	v_fmac_f64_e32 v[4:5], s[2:3], v[24:25]
	v_add_f64 v[24:25], v[54:55], v[2:3]
	v_add_f64 v[2:3], v[2:3], v[6:7]
	s_waitcnt vmcnt(1)
	v_mul_f64 v[132:133], v[50:51], v[34:35]
	v_mul_f64 v[34:35], v[76:77], v[34:35]
	v_fma_f64 v[10:11], v[60:61], v[16:17], -v[18:19]
	s_waitcnt vmcnt(0)
	v_mul_f64 v[18:19], v[116:117], v[38:39]
	v_mul_f64 v[20:21], v[82:83], v[38:39]
	v_add_f64 v[38:39], v[24:25], v[6:7]
	v_fma_f64 v[6:7], -0.5, v[2:3], v[54:55]
	v_add_f64 v[2:3], v[120:121], -v[122:123]
	v_add_f64 v[24:25], v[124:125], v[126:127]
	v_fma_f64 v[16:17], v[50:51], v[32:33], -v[34:35]
	v_fma_f64 v[50:51], s[2:3], v[2:3], v[6:7]
	v_fmac_f64_e32 v[6:7], s[0:1], v[2:3]
	v_add_f64 v[2:3], v[74:75], v[124:125]
	v_fmac_f64_e32 v[74:75], -0.5, v[24:25]
	v_add_f64 v[24:25], v[8:9], -v[10:11]
	v_fmac_f64_e32 v[132:133], v[76:77], v[32:33]
	v_fma_f64 v[32:33], s[0:1], v[24:25], v[74:75]
	v_fmac_f64_e32 v[74:75], s[2:3], v[24:25]
	v_add_f64 v[24:25], v[56:57], v[8:9]
	v_add_f64 v[8:9], v[8:9], v[10:11]
	v_fmac_f64_e32 v[56:57], -0.5, v[8:9]
	v_add_f64 v[8:9], v[124:125], -v[126:127]
	v_fma_f64 v[54:55], s[2:3], v[8:9], v[56:57]
	v_fmac_f64_e32 v[56:57], s[0:1], v[8:9]
	v_add_f64 v[8:9], v[68:69], v[128:129]
	v_add_f64 v[52:53], v[24:25], v[10:11]
	;; [unrolled: 1-line block ×4, first 2 shown]
	v_fma_f64 v[24:25], -0.5, v[8:9], v[68:69]
	v_add_f64 v[8:9], v[12:13], -v[14:15]
	v_fma_f64 v[34:35], s[0:1], v[8:9], v[24:25]
	v_fmac_f64_e32 v[24:25], s[2:3], v[8:9]
	v_add_f64 v[8:9], v[110:111], v[12:13]
	v_add_f64 v[58:59], v[8:9], v[14:15]
	;; [unrolled: 1-line block ×3, first 2 shown]
	v_fma_f64 v[14:15], -0.5, v[8:9], v[110:111]
	v_add_f64 v[8:9], v[128:129], -v[130:131]
	v_fmac_f64_e32 v[18:19], v[82:83], v[36:37]
	v_fma_f64 v[60:61], s[2:3], v[8:9], v[14:15]
	v_fmac_f64_e32 v[14:15], s[0:1], v[8:9]
	v_add_f64 v[8:9], v[70:71], v[132:133]
	v_fma_f64 v[20:21], v[116:117], v[36:37], -v[20:21]
	v_add_f64 v[12:13], v[8:9], v[18:19]
	v_add_f64 v[8:9], v[132:133], v[18:19]
	v_fmac_f64_e32 v[70:71], -0.5, v[8:9]
	v_add_f64 v[8:9], v[16:17], -v[20:21]
	v_fma_f64 v[46:47], s[0:1], v[8:9], v[70:71]
	v_fmac_f64_e32 v[70:71], s[2:3], v[8:9]
	v_add_f64 v[8:9], v[112:113], v[16:17]
	v_add_f64 v[62:63], v[8:9], v[20:21]
	;; [unrolled: 1-line block ×3, first 2 shown]
	v_fmac_f64_e32 v[112:113], -0.5, v[8:9]
	v_add_f64 v[8:9], v[132:133], -v[18:19]
	v_fma_f64 v[16:17], s[2:3], v[8:9], v[112:113]
	v_fmac_f64_e32 v[112:113], s[0:1], v[8:9]
	v_mov_b32_e32 v8, 3
	v_fmac_f64_e32 v[66:67], -0.5, v[0:1]
	v_add_f64 v[0:1], v[102:103], -v[118:119]
	v_mad_u32_u24 v9, v109, s10, 0
	v_lshlrev_b32_sdwa v18, v8, v134 dst_sel:DWORD dst_unused:UNUSED_PAD src0_sel:DWORD src1_sel:BYTE_0
	v_add_f64 v[22:23], v[22:23], v[118:119]
	v_fma_f64 v[36:37], s[2:3], v[0:1], v[66:67]
	v_fmac_f64_e32 v[66:67], s[0:1], v[0:1]
	v_add_f64 v[0:1], v[72:73], v[120:121]
	v_add3_u32 v9, v9, v18, v99
	v_mad_u32_u24 v18, v135, s10, 0
	v_lshlrev_b32_sdwa v19, v8, v136 dst_sel:DWORD dst_unused:UNUSED_PAD src0_sel:DWORD src1_sel:BYTE_0
	v_add_f64 v[0:1], v[0:1], v[122:123]
	ds_write2_b64 v9, v[22:23], v[26:27] offset1:17
	ds_write_b64 v9, v[40:41] offset:272
	v_add3_u32 v40, v18, v19, v99
	ds_write2_b64 v40, v[0:1], v[28:29] offset1:17
	ds_write_b64 v40, v[4:5] offset:272
	v_mad_u32_u24 v0, v137, s10, 0
	v_lshlrev_b32_sdwa v1, v8, v138 dst_sel:DWORD dst_unused:UNUSED_PAD src0_sel:DWORD src1_sel:BYTE_0
	v_add3_u32 v41, v0, v1, v99
	v_mad_u32_u24 v0, v139, s10, 0
	v_lshlrev_b32_sdwa v1, v8, v140 dst_sel:DWORD dst_unused:UNUSED_PAD src0_sel:DWORD src1_sel:BYTE_0
	v_add3_u32 v64, v0, v1, v99
	v_mad_u32_u24 v0, v141, s10, 0
	v_lshlrev_b32_sdwa v1, v8, v142 dst_sel:DWORD dst_unused:UNUSED_PAD src0_sel:DWORD src1_sel:BYTE_0
	v_add_f64 v[2:3], v[2:3], v[126:127]
	v_add3_u32 v65, v0, v1, v99
	ds_write2_b64 v41, v[2:3], v[32:33] offset1:17
	ds_write_b64 v41, v[74:75] offset:272
	ds_write2_b64 v64, v[10:11], v[34:35] offset1:17
	ds_write_b64 v64, v[24:25] offset:272
	;; [unrolled: 2-line block ×3, first 2 shown]
	s_waitcnt lgkmcnt(0)
	s_barrier
	ds_read_b64 v[4:5], v104
	ds_read2_b64 v[10:13], v105 offset0:153 offset1:204
	ds_read2_b64 v[18:21], v108 offset0:127 offset1:178
	;; [unrolled: 1-line block ×7, first 2 shown]
	s_waitcnt lgkmcnt(0)
	s_barrier
	ds_write2_b64 v9, v[30:31], v[36:37] offset1:17
	ds_write_b64 v9, v[66:67] offset:272
	ds_write2_b64 v40, v[38:39], v[50:51] offset1:17
	ds_write_b64 v40, v[6:7] offset:272
	;; [unrolled: 2-line block ×5, first 2 shown]
	v_lshlrev_b32_e32 v38, 2, v98
	v_mov_b32_e32 v39, 0
	v_lshl_add_u64 v[6:7], v[38:39], 4, s[8:9]
	s_waitcnt lgkmcnt(0)
	s_barrier
	global_load_dwordx4 v[50:53], v[6:7], off offset:544
	global_load_dwordx4 v[54:57], v[6:7], off offset:560
	;; [unrolled: 1-line block ×4, first 2 shown]
	s_movk_i32 s10, 0xa1
	v_mul_lo_u16_sdwa v6, v44, s10 dst_sel:DWORD dst_unused:UNUSED_PAD src0_sel:BYTE_0 src1_sel:DWORD
	v_lshrrev_b16_e32 v6, 13, v6
	v_mul_lo_u16_e32 v6, 51, v6
	v_sub_u16_e32 v9, v44, v6
	v_mov_b32_e32 v6, 6
	v_lshlrev_b32_sdwa v6, v6, v9 dst_sel:DWORD dst_unused:UNUSED_PAD src0_sel:DWORD src1_sel:BYTE_0
	global_load_dwordx4 v[66:69], v6, s[8:9] offset:544
	global_load_dwordx4 v[70:73], v6, s[8:9] offset:560
	global_load_dwordx4 v[74:77], v6, s[8:9] offset:576
	global_load_dwordx4 v[78:81], v6, s[8:9] offset:592
	ds_read_b64 v[30:31], v104
	ds_read2_b64 v[82:85], v105 offset0:153 offset1:204
	ds_read2_b64 v[86:89], v108 offset0:127 offset1:178
	;; [unrolled: 1-line block ×7, first 2 shown]
	s_mov_b32 s10, 0x4755a5e
	s_mov_b32 s11, 0xbfe2cf23
	;; [unrolled: 1-line block ×3, first 2 shown]
	s_waitcnt lgkmcnt(0)
	s_barrier
	s_waitcnt vmcnt(7)
	v_mul_f64 v[36:37], v[82:83], v[52:53]
	v_mul_f64 v[6:7], v[10:11], v[52:53]
	v_fmac_f64_e32 v[36:37], v[10:11], v[50:51]
	v_fma_f64 v[10:11], v[82:83], v[50:51], -v[6:7]
	s_waitcnt vmcnt(6)
	v_mul_f64 v[40:41], v[88:89], v[56:57]
	v_mul_f64 v[6:7], v[20:21], v[56:57]
	v_fmac_f64_e32 v[40:41], v[20:21], v[54:55]
	v_fma_f64 v[20:21], v[88:89], v[54:55], -v[6:7]
	;; [unrolled: 5-line block ×4, first 2 shown]
	v_mul_f64 v[90:91], v[84:85], v[52:53]
	v_mul_f64 v[6:7], v[12:13], v[52:53]
	v_fmac_f64_e32 v[90:91], v[12:13], v[50:51]
	v_fma_f64 v[12:13], v[84:85], v[50:51], -v[6:7]
	v_mul_f64 v[50:51], v[114:115], v[56:57]
	v_mul_f64 v[6:7], v[32:33], v[56:57]
	v_fmac_f64_e32 v[50:51], v[32:33], v[54:55]
	v_fma_f64 v[32:33], v[114:115], v[54:55], -v[6:7]
	;; [unrolled: 4-line block ×3, first 2 shown]
	v_mul_f64 v[54:55], v[118:119], v[64:65]
	v_mul_f64 v[6:7], v[46:47], v[64:65]
	s_waitcnt vmcnt(3)
	v_mul_f64 v[56:57], v[86:87], v[68:69]
	v_fmac_f64_e32 v[54:55], v[46:47], v[62:63]
	v_fma_f64 v[46:47], v[118:119], v[62:63], -v[6:7]
	v_fmac_f64_e32 v[56:57], v[18:19], v[66:67]
	v_mul_f64 v[6:7], v[18:19], v[68:69]
	s_waitcnt vmcnt(2)
	v_mul_f64 v[18:19], v[116:117], v[72:73]
	s_waitcnt vmcnt(1)
	v_mul_f64 v[58:59], v[110:111], v[76:77]
	v_add_f64 v[64:65], v[40:41], v[82:83]
	v_fma_f64 v[6:7], v[86:87], v[66:67], -v[6:7]
	v_fmac_f64_e32 v[18:19], v[34:35], v[70:71]
	v_mul_f64 v[34:35], v[34:35], v[72:73]
	v_fmac_f64_e32 v[58:59], v[26:27], v[74:75]
	v_mul_f64 v[26:27], v[26:27], v[76:77]
	v_fma_f64 v[64:65], -0.5, v[64:65], v[4:5]
	v_add_f64 v[66:67], v[10:11], -v[28:29]
	v_fma_f64 v[34:35], v[116:117], v[70:71], -v[34:35]
	v_fma_f64 v[26:27], v[110:111], v[74:75], -v[26:27]
	v_fma_f64 v[68:69], s[12:13], v[66:67], v[64:65]
	v_add_f64 v[70:71], v[20:21], -v[22:23]
	v_add_f64 v[72:73], v[36:37], -v[40:41]
	;; [unrolled: 1-line block ×3, first 2 shown]
	v_fmac_f64_e32 v[64:65], s[16:17], v[66:67]
	v_fmac_f64_e32 v[68:69], s[10:11], v[70:71]
	v_add_f64 v[72:73], v[72:73], v[74:75]
	v_fmac_f64_e32 v[64:65], s[18:19], v[70:71]
	v_fmac_f64_e32 v[68:69], s[14:15], v[72:73]
	;; [unrolled: 1-line block ×3, first 2 shown]
	v_add_f64 v[72:73], v[36:37], v[88:89]
	v_add_f64 v[62:63], v[4:5], v[36:37]
	v_fmac_f64_e32 v[4:5], -0.5, v[72:73]
	s_waitcnt vmcnt(0)
	v_mul_f64 v[60:61], v[120:121], v[80:81]
	v_fma_f64 v[72:73], s[16:17], v[70:71], v[4:5]
	v_add_f64 v[74:75], v[40:41], -v[36:37]
	v_add_f64 v[76:77], v[82:83], -v[88:89]
	v_fmac_f64_e32 v[4:5], s[12:13], v[70:71]
	v_add_f64 v[70:71], v[20:21], v[22:23]
	v_fmac_f64_e32 v[60:61], v[48:49], v[78:79]
	v_mul_f64 v[48:49], v[48:49], v[80:81]
	v_fmac_f64_e32 v[72:73], s[10:11], v[66:67]
	v_add_f64 v[74:75], v[74:75], v[76:77]
	v_fmac_f64_e32 v[4:5], s[18:19], v[66:67]
	v_fma_f64 v[70:71], -0.5, v[70:71], v[30:31]
	v_add_f64 v[36:37], v[36:37], -v[88:89]
	v_fma_f64 v[48:49], v[120:121], v[78:79], -v[48:49]
	v_add_f64 v[62:63], v[62:63], v[40:41]
	v_fmac_f64_e32 v[72:73], s[14:15], v[74:75]
	v_fmac_f64_e32 v[4:5], s[14:15], v[74:75]
	v_fma_f64 v[74:75], s[16:17], v[36:37], v[70:71]
	v_add_f64 v[40:41], v[40:41], -v[82:83]
	v_add_f64 v[76:77], v[10:11], -v[20:21]
	;; [unrolled: 1-line block ×3, first 2 shown]
	v_fmac_f64_e32 v[70:71], s[12:13], v[36:37]
	v_add_f64 v[66:67], v[30:31], v[10:11]
	v_fmac_f64_e32 v[74:75], s[18:19], v[40:41]
	v_add_f64 v[76:77], v[76:77], v[78:79]
	;; [unrolled: 2-line block ×3, first 2 shown]
	v_fmac_f64_e32 v[74:75], s[14:15], v[76:77]
	v_fmac_f64_e32 v[70:71], s[14:15], v[76:77]
	v_add_f64 v[76:77], v[10:11], v[28:29]
	v_add_f64 v[10:11], v[20:21], -v[10:11]
	v_add_f64 v[20:21], v[22:23], -v[28:29]
	v_fmac_f64_e32 v[30:31], -0.5, v[76:77]
	v_add_f64 v[10:11], v[10:11], v[20:21]
	v_add_f64 v[20:21], v[50:51], v[52:53]
	;; [unrolled: 1-line block ×3, first 2 shown]
	v_fma_f64 v[76:77], s[12:13], v[40:41], v[30:31]
	v_fmac_f64_e32 v[30:31], s[16:17], v[40:41]
	v_fma_f64 v[20:21], -0.5, v[20:21], v[0:1]
	v_add_f64 v[22:23], v[12:13], -v[46:47]
	v_add_f64 v[66:67], v[66:67], v[28:29]
	v_fmac_f64_e32 v[76:77], s[18:19], v[36:37]
	v_fmac_f64_e32 v[30:31], s[10:11], v[36:37]
	v_fma_f64 v[28:29], s[12:13], v[22:23], v[20:21]
	v_add_f64 v[36:37], v[32:33], -v[24:25]
	v_add_f64 v[40:41], v[90:91], -v[50:51]
	;; [unrolled: 1-line block ×3, first 2 shown]
	v_fmac_f64_e32 v[20:21], s[16:17], v[22:23]
	v_fmac_f64_e32 v[28:29], s[10:11], v[36:37]
	v_add_f64 v[40:41], v[40:41], v[78:79]
	v_fmac_f64_e32 v[20:21], s[18:19], v[36:37]
	v_fmac_f64_e32 v[28:29], s[14:15], v[40:41]
	;; [unrolled: 1-line block ×3, first 2 shown]
	v_add_f64 v[40:41], v[90:91], v[54:55]
	v_fmac_f64_e32 v[76:77], s[14:15], v[10:11]
	v_fmac_f64_e32 v[30:31], s[14:15], v[10:11]
	v_add_f64 v[10:11], v[0:1], v[90:91]
	v_fma_f64 v[0:1], -0.5, v[40:41], v[0:1]
	v_fma_f64 v[40:41], s[16:17], v[36:37], v[0:1]
	v_fmac_f64_e32 v[0:1], s[12:13], v[36:37]
	v_fmac_f64_e32 v[40:41], s[10:11], v[22:23]
	;; [unrolled: 1-line block ×3, first 2 shown]
	v_add_f64 v[22:23], v[14:15], v[12:13]
	v_add_f64 v[22:23], v[22:23], v[32:33]
	v_add_f64 v[78:79], v[50:51], -v[90:91]
	v_add_f64 v[80:81], v[52:53], -v[54:55]
	v_add_f64 v[22:23], v[22:23], v[24:25]
	v_add_f64 v[10:11], v[10:11], v[50:51]
	;; [unrolled: 1-line block ×6, first 2 shown]
	v_fmac_f64_e32 v[40:41], s[14:15], v[78:79]
	v_fmac_f64_e32 v[0:1], s[14:15], v[78:79]
	v_fma_f64 v[78:79], -0.5, v[22:23], v[14:15]
	v_add_f64 v[22:23], v[90:91], -v[54:55]
	v_add_f64 v[10:11], v[10:11], v[54:55]
	v_fma_f64 v[54:55], s[16:17], v[22:23], v[78:79]
	v_add_f64 v[50:51], v[50:51], -v[52:53]
	v_add_f64 v[52:53], v[12:13], -v[32:33]
	v_add_f64 v[80:81], v[46:47], -v[24:25]
	v_fmac_f64_e32 v[78:79], s[12:13], v[22:23]
	v_fmac_f64_e32 v[54:55], s[18:19], v[50:51]
	v_add_f64 v[52:53], v[52:53], v[80:81]
	v_fmac_f64_e32 v[78:79], s[10:11], v[50:51]
	v_fmac_f64_e32 v[54:55], s[14:15], v[52:53]
	;; [unrolled: 1-line block ×3, first 2 shown]
	v_add_f64 v[52:53], v[12:13], v[46:47]
	v_fma_f64 v[52:53], -0.5, v[52:53], v[14:15]
	v_add_f64 v[12:13], v[32:33], -v[12:13]
	v_add_f64 v[14:15], v[24:25], -v[46:47]
	v_fma_f64 v[80:81], s[12:13], v[50:51], v[52:53]
	v_add_f64 v[12:13], v[12:13], v[14:15]
	v_fmac_f64_e32 v[52:53], s[16:17], v[50:51]
	v_add_f64 v[14:15], v[18:19], v[58:59]
	v_fmac_f64_e32 v[80:81], s[18:19], v[22:23]
	v_fmac_f64_e32 v[52:53], s[10:11], v[22:23]
	v_fma_f64 v[14:15], -0.5, v[14:15], v[2:3]
	v_add_f64 v[22:23], v[6:7], -v[48:49]
	v_fma_f64 v[24:25], s[12:13], v[22:23], v[14:15]
	v_add_f64 v[32:33], v[34:35], -v[26:27]
	v_add_f64 v[46:47], v[56:57], -v[18:19]
	;; [unrolled: 1-line block ×3, first 2 shown]
	v_fmac_f64_e32 v[14:15], s[16:17], v[22:23]
	v_fmac_f64_e32 v[24:25], s[10:11], v[32:33]
	v_add_f64 v[46:47], v[46:47], v[50:51]
	v_fmac_f64_e32 v[14:15], s[18:19], v[32:33]
	v_fmac_f64_e32 v[24:25], s[14:15], v[46:47]
	;; [unrolled: 1-line block ×3, first 2 shown]
	v_add_f64 v[46:47], v[56:57], v[60:61]
	v_fmac_f64_e32 v[80:81], s[14:15], v[12:13]
	v_fmac_f64_e32 v[52:53], s[14:15], v[12:13]
	v_add_f64 v[12:13], v[2:3], v[56:57]
	v_fmac_f64_e32 v[2:3], -0.5, v[46:47]
	v_fma_f64 v[46:47], s[16:17], v[32:33], v[2:3]
	v_fmac_f64_e32 v[2:3], s[12:13], v[32:33]
	v_fmac_f64_e32 v[46:47], s[10:11], v[22:23]
	;; [unrolled: 1-line block ×3, first 2 shown]
	v_add_f64 v[22:23], v[16:17], v[6:7]
	v_add_f64 v[22:23], v[22:23], v[34:35]
	;; [unrolled: 1-line block ×3, first 2 shown]
	v_add_f64 v[50:51], v[18:19], -v[56:57]
	v_add_f64 v[82:83], v[58:59], -v[60:61]
	v_add_f64 v[22:23], v[22:23], v[26:27]
	v_add_f64 v[12:13], v[12:13], v[18:19]
	v_add_f64 v[50:51], v[50:51], v[82:83]
	v_add_f64 v[32:33], v[22:23], v[48:49]
	v_add_f64 v[22:23], v[34:35], v[26:27]
	v_add_f64 v[12:13], v[12:13], v[58:59]
	v_fmac_f64_e32 v[46:47], s[14:15], v[50:51]
	v_fmac_f64_e32 v[2:3], s[14:15], v[50:51]
	v_fma_f64 v[50:51], -0.5, v[22:23], v[16:17]
	v_add_f64 v[22:23], v[56:57], -v[60:61]
	v_add_f64 v[12:13], v[12:13], v[60:61]
	v_fma_f64 v[56:57], s[16:17], v[22:23], v[50:51]
	v_add_f64 v[18:19], v[18:19], -v[58:59]
	v_add_f64 v[58:59], v[6:7], -v[34:35]
	;; [unrolled: 1-line block ×3, first 2 shown]
	v_fmac_f64_e32 v[50:51], s[12:13], v[22:23]
	v_fmac_f64_e32 v[56:57], s[18:19], v[18:19]
	v_add_f64 v[58:59], v[58:59], v[60:61]
	v_fmac_f64_e32 v[50:51], s[10:11], v[18:19]
	v_add_f64 v[62:63], v[62:63], v[88:89]
	v_fmac_f64_e32 v[56:57], s[14:15], v[58:59]
	v_fmac_f64_e32 v[50:51], s[14:15], v[58:59]
	v_add_f64 v[58:59], v[6:7], v[48:49]
	v_fmac_f64_e32 v[16:17], -0.5, v[58:59]
	ds_write2_b64 v105, v[62:63], v[68:69] offset1:51
	ds_write2_b64 v105, v[72:73], v[4:5] offset0:102 offset1:153
	ds_write2_b64 v105, v[64:65], v[10:11] offset0:204 offset1:255
	;; [unrolled: 1-line block ×4, first 2 shown]
	v_lshlrev_b32_sdwa v0, v8, v9 dst_sel:DWORD dst_unused:UNUSED_PAD src0_sel:DWORD src1_sel:BYTE_0
	v_fma_f64 v[58:59], s[12:13], v[18:19], v[16:17]
	v_add_f64 v[6:7], v[34:35], -v[6:7]
	v_add_f64 v[26:27], v[26:27], -v[48:49]
	v_fmac_f64_e32 v[16:17], s[16:17], v[18:19]
	v_add3_u32 v34, 0, v0, v99
	v_fmac_f64_e32 v[58:59], s[18:19], v[22:23]
	v_add_f64 v[6:7], v[6:7], v[26:27]
	v_fmac_f64_e32 v[16:17], s[10:11], v[22:23]
	v_add_u32_e32 v35, 0xc00, v34
	v_add_u32_e32 v38, 0x1000, v34
	v_fmac_f64_e32 v[58:59], s[14:15], v[6:7]
	v_fmac_f64_e32 v[16:17], s[14:15], v[6:7]
	ds_write2_b64 v35, v[12:13], v[24:25] offset0:126 offset1:177
	ds_write2_b64 v38, v[46:47], v[2:3] offset0:100 offset1:151
	ds_write_b64 v34, v[14:15] offset:5712
	s_waitcnt lgkmcnt(0)
	s_barrier
	ds_read_b64 v[40:41], v104
	ds_read2_b64 v[4:7], v108 offset0:127 offset1:178
	ds_read2_b64 v[0:3], v106 offset0:203 offset1:254
	;; [unrolled: 1-line block ×7, first 2 shown]
	s_waitcnt lgkmcnt(0)
	s_barrier
	ds_write2_b64 v105, v[66:67], v[74:75] offset1:51
	ds_write2_b64 v105, v[76:77], v[30:31] offset0:102 offset1:153
	ds_write2_b64 v105, v[70:71], v[36:37] offset0:204 offset1:255
	;; [unrolled: 1-line block ×6, first 2 shown]
	ds_write_b64 v34, v[50:51] offset:5712
	s_waitcnt lgkmcnt(0)
	s_barrier
	s_and_saveexec_b64 s[10:11], vcc
	s_cbranch_execz .LBB0_16
; %bb.15:
	v_lshlrev_b32_e32 v38, 1, v42
	v_lshl_add_u64 v[16:17], v[38:39], 4, s[8:9]
	v_lshlrev_b32_e32 v38, 1, v43
	global_load_dwordx4 v[34:37], v[16:17], off offset:3808
	global_load_dwordx4 v[30:33], v[16:17], off offset:3824
	v_lshl_add_u64 v[16:17], v[38:39], 4, s[8:9]
	v_lshlrev_b32_e32 v38, 1, v44
	global_load_dwordx4 v[46:49], v[16:17], off offset:3808
	global_load_dwordx4 v[50:53], v[16:17], off offset:3824
	v_lshl_add_u64 v[16:17], v[38:39], 4, s[8:9]
	global_load_dwordx4 v[54:57], v[16:17], off offset:3808
	global_load_dwordx4 v[58:61], v[16:17], off offset:3824
	v_lshlrev_b32_e32 v38, 1, v45
	v_lshl_add_u64 v[74:75], v[38:39], 4, s[8:9]
	ds_read2_b64 v[62:65], v105 offset0:153 offset1:204
	global_load_dwordx4 v[66:69], v[74:75], off offset:3824
	global_load_dwordx4 v[70:73], v[74:75], off offset:3808
	v_mul_lo_u32 v78, s5, v100
	v_mul_lo_u32 v79, s4, v101
	v_mad_u64_u32 v[16:17], s[4:5], s4, v100, 0
	v_add_u32_e32 v86, 0x800, v105
	v_add_u32_e32 v38, 0x1000, v105
	ds_read2_b64 v[74:77], v105 offset0:51 offset1:102
	v_add3_u32 v17, v17, v79, v78
	ds_read2_b64 v[78:81], v86 offset0:203 offset1:254
	ds_read2_b64 v[82:85], v38 offset0:151 offset1:202
	;; [unrolled: 1-line block ×4, first 2 shown]
	v_lshlrev_b32_e32 v38, 1, v98
	v_lshl_add_u64 v[94:95], v[38:39], 4, s[8:9]
	global_load_dwordx4 v[100:103], v[94:95], off offset:3824
	global_load_dwordx4 v[106:109], v[94:95], off offset:3808
	v_lshl_add_u64 v[16:17], v[16:17], 4, s[6:7]
	v_mov_b32_e32 v99, v39
	v_lshl_add_u64 v[16:17], v[96:97], 4, v[16:17]
	s_movk_i32 s4, 0x1000
	v_lshl_add_u64 v[16:17], v[98:99], 4, v[16:17]
	s_waitcnt vmcnt(9)
	v_mul_f64 v[94:95], v[0:1], v[36:37]
	s_waitcnt vmcnt(8)
	v_mul_f64 v[110:111], v[28:29], v[32:33]
	s_waitcnt lgkmcnt(3)
	v_mul_f64 v[36:37], v[78:79], v[36:37]
	s_waitcnt lgkmcnt(2)
	v_mul_f64 v[32:33], v[84:85], v[32:33]
	v_fma_f64 v[78:79], v[78:79], v[34:35], -v[94:95]
	v_fma_f64 v[84:85], v[84:85], v[30:31], -v[110:111]
	v_fmac_f64_e32 v[36:37], v[0:1], v[34:35]
	v_fmac_f64_e32 v[32:33], v[28:29], v[30:31]
	s_waitcnt vmcnt(7)
	v_mul_f64 v[0:1], v[24:25], v[48:49]
	s_waitcnt vmcnt(6)
	v_mul_f64 v[28:29], v[26:27], v[52:53]
	s_waitcnt lgkmcnt(1)
	v_mul_f64 v[34:35], v[88:89], v[48:49]
	v_mul_f64 v[52:53], v[82:83], v[52:53]
	v_add_f64 v[30:31], v[78:79], v[84:85]
	v_add_f64 v[94:95], v[64:65], v[78:79]
	v_fma_f64 v[0:1], v[88:89], v[46:47], -v[0:1]
	v_fma_f64 v[82:83], v[82:83], v[50:51], -v[28:29]
	v_fmac_f64_e32 v[34:35], v[24:25], v[46:47]
	v_fmac_f64_e32 v[52:53], v[26:27], v[50:51]
	s_waitcnt vmcnt(5)
	v_mul_f64 v[46:47], v[22:23], v[56:57]
	s_waitcnt vmcnt(4)
	v_mul_f64 v[50:51], v[14:15], v[60:61]
	v_add_f64 v[48:49], v[36:37], -v[32:33]
	v_add_f64 v[78:79], v[78:79], -v[84:85]
	v_add_f64 v[110:111], v[36:37], v[32:33]
	v_add_f64 v[36:37], v[20:21], v[36:37]
	v_mul_f64 v[88:89], v[86:87], v[56:57]
	s_waitcnt lgkmcnt(0)
	v_mul_f64 v[112:113], v[92:93], v[60:61]
	v_fma_f64 v[26:27], -0.5, v[30:31], v[64:65]
	v_add_f64 v[30:31], v[94:95], v[84:85]
	v_fma_f64 v[84:85], v[86:87], v[54:55], -v[46:47]
	v_fma_f64 v[86:87], v[92:93], v[58:59], -v[50:51]
	v_add_f64 v[28:29], v[36:37], v[32:33]
	v_add_f64 v[32:33], v[0:1], v[82:83]
	;; [unrolled: 1-line block ×4, first 2 shown]
	v_fmac_f64_e32 v[88:89], v[22:23], v[54:55]
	v_fmac_f64_e32 v[112:113], v[14:15], v[58:59]
	v_add_f64 v[14:15], v[84:85], v[86:87]
	v_add_f64 v[36:37], v[34:35], -v[52:53]
	v_add_f64 v[0:1], v[0:1], -v[82:83]
	v_add_f64 v[64:65], v[18:19], v[34:35]
	v_fma_f64 v[22:23], s[0:1], v[48:49], v[26:27]
	v_fmac_f64_e32 v[26:27], s[2:3], v[48:49]
	v_fma_f64 v[34:35], -0.5, v[32:33], v[62:63]
	v_add_f64 v[48:49], v[56:57], v[82:83]
	v_fma_f64 v[32:33], -0.5, v[60:61], v[18:19]
	v_fma_f64 v[56:57], -0.5, v[14:15], v[76:77]
	v_add_f64 v[14:15], v[88:89], v[112:113]
	v_fma_f64 v[24:25], -0.5, v[110:111], v[20:21]
	v_fma_f64 v[50:51], s[2:3], v[0:1], v[32:33]
	v_fmac_f64_e32 v[32:33], s[0:1], v[0:1]
	v_add_f64 v[0:1], v[88:89], -v[112:113]
	v_fma_f64 v[54:55], -0.5, v[14:15], v[10:11]
	v_add_u32_e32 v14, 0x400, v105
	v_fma_f64 v[20:21], s[2:3], v[78:79], v[24:25]
	v_fmac_f64_e32 v[24:25], s[0:1], v[78:79]
	v_fma_f64 v[60:61], s[0:1], v[0:1], v[56:57]
	v_fmac_f64_e32 v[56:57], s[2:3], v[0:1]
	v_add_f64 v[0:1], v[76:77], v[84:85]
	ds_read2_b64 v[76:79], v14 offset0:127 offset1:178
	v_add_f64 v[46:47], v[64:65], v[52:53]
	v_add_f64 v[64:65], v[0:1], v[86:87]
	v_add_f64 v[0:1], v[84:85], -v[86:87]
	v_fma_f64 v[58:59], s[2:3], v[0:1], v[54:55]
	v_fmac_f64_e32 v[54:55], s[0:1], v[0:1]
	v_add_f64 v[0:1], v[10:11], v[88:89]
	v_fma_f64 v[52:53], s[0:1], v[36:37], v[34:35]
	v_fmac_f64_e32 v[34:35], s[2:3], v[36:37]
	v_add_f64 v[62:63], v[0:1], v[112:113]
	s_waitcnt vmcnt(2)
	v_mul_f64 v[0:1], v[6:7], v[72:73]
	v_mul_f64 v[10:11], v[12:13], v[68:69]
	s_waitcnt lgkmcnt(0)
	v_mul_f64 v[36:37], v[78:79], v[72:73]
	v_fma_f64 v[0:1], v[78:79], v[70:71], -v[0:1]
	v_fma_f64 v[18:19], v[90:91], v[66:67], -v[10:11]
	v_fmac_f64_e32 v[36:37], v[6:7], v[70:71]
	v_mul_f64 v[6:7], v[90:91], v[68:69]
	v_add_f64 v[10:11], v[0:1], v[18:19]
	v_fmac_f64_e32 v[6:7], v[12:13], v[66:67]
	v_fma_f64 v[14:15], -0.5, v[10:11], v[74:75]
	v_add_f64 v[10:11], v[36:37], -v[6:7]
	v_add_f64 v[12:13], v[36:37], v[6:7]
	v_fma_f64 v[68:69], s[0:1], v[10:11], v[14:15]
	v_fmac_f64_e32 v[14:15], s[2:3], v[10:11]
	v_add_f64 v[10:11], v[74:75], v[0:1]
	v_add_f64 v[0:1], v[0:1], -v[18:19]
	v_fma_f64 v[12:13], -0.5, v[12:13], v[8:9]
	v_fma_f64 v[66:67], s[2:3], v[0:1], v[12:13]
	v_fmac_f64_e32 v[12:13], s[0:1], v[0:1]
	v_add_f64 v[0:1], v[8:9], v[36:37]
	v_add_f64 v[8:9], v[0:1], v[6:7]
	ds_read_b64 v[0:1], v104
	s_waitcnt vmcnt(0)
	v_mul_f64 v[6:7], v[4:5], v[108:109]
	v_add_f64 v[10:11], v[10:11], v[18:19]
	v_fma_f64 v[18:19], v[76:77], v[106:107], -v[6:7]
	v_mul_f64 v[6:7], v[2:3], v[102:103]
	v_fma_f64 v[36:37], v[80:81], v[100:101], -v[6:7]
	v_add_f64 v[6:7], v[18:19], v[36:37]
	v_mul_f64 v[70:71], v[76:77], v[108:109]
	v_mul_f64 v[74:75], v[80:81], v[102:103]
	s_waitcnt lgkmcnt(0)
	v_fma_f64 v[6:7], -0.5, v[6:7], v[0:1]
	v_fmac_f64_e32 v[70:71], v[4:5], v[106:107]
	v_fmac_f64_e32 v[74:75], v[2:3], v[100:101]
	v_add_f64 v[0:1], v[0:1], v[18:19]
	v_add_f64 v[4:5], v[70:71], -v[74:75]
	v_add_f64 v[72:73], v[0:1], v[36:37]
	v_add_f64 v[0:1], v[70:71], v[74:75]
	v_fma_f64 v[2:3], s[0:1], v[4:5], v[6:7]
	v_fmac_f64_e32 v[6:7], s[2:3], v[4:5]
	v_add_f64 v[18:19], v[18:19], -v[36:37]
	v_fma_f64 v[4:5], -0.5, v[0:1], v[40:41]
	v_fma_f64 v[0:1], s[2:3], v[18:19], v[4:5]
	v_fmac_f64_e32 v[4:5], s[0:1], v[18:19]
	v_add_f64 v[18:19], v[40:41], v[70:71]
	v_add_f64 v[70:71], v[18:19], v[74:75]
	global_store_dwordx4 v[16:17], v[70:73], off
	global_store_dwordx4 v[16:17], v[4:7], off offset:4080
	s_movk_i32 s2, 0x2000
	s_mov_b32 s3, 0x80808081
	v_add_co_u32_e32 v4, vcc, s4, v16
	s_mov_b64 s[0:1], 0x660
	s_nop 0
	v_addc_co_u32_e32 v5, vcc, 0, v17, vcc
	global_store_dwordx4 v[4:5], v[0:3], off offset:4064
	global_store_dwordx4 v[16:17], v[8:11], off offset:816
	;; [unrolled: 1-line block ×3, first 2 shown]
	v_add_co_u32_e32 v0, vcc, s2, v16
	s_nop 1
	v_addc_co_u32_e32 v1, vcc, 0, v17, vcc
	global_store_dwordx4 v[0:1], v[66:69], off offset:784
	v_mul_hi_u32 v0, v44, s3
	v_lshrrev_b32_e32 v0, 7, v0
	v_mul_u32_u24_e32 v38, 0x1fe, v0
	v_lshl_add_u64 v[0:1], v[38:39], 4, v[16:17]
	v_lshl_add_u64 v[2:3], v[0:1], 0, s[0:1]
	global_store_dwordx4 v[0:1], v[62:65], off offset:1632
	global_store_dwordx4 v[2:3], v[54:57], off offset:4080
	v_add_co_u32_e32 v0, vcc, s2, v0
	s_mov_b64 s[0:1], 0x990
	s_nop 0
	v_addc_co_u32_e32 v1, vcc, 0, v1, vcc
	global_store_dwordx4 v[0:1], v[58:61], off offset:1600
	v_mul_hi_u32 v0, v43, s3
	v_lshrrev_b32_e32 v0, 7, v0
	v_mul_u32_u24_e32 v38, 0x1fe, v0
	v_lshl_add_u64 v[0:1], v[38:39], 4, v[16:17]
	v_lshl_add_u64 v[2:3], v[0:1], 0, s[0:1]
	global_store_dwordx4 v[0:1], v[46:49], off offset:2448
	global_store_dwordx4 v[2:3], v[32:35], off offset:4080
	v_add_co_u32_e32 v0, vcc, s2, v0
	s_mov_b64 s[0:1], 0xcc0
	s_nop 0
	v_addc_co_u32_e32 v1, vcc, 0, v1, vcc
	global_store_dwordx4 v[0:1], v[50:53], off offset:2416
	v_mul_hi_u32 v0, v42, s3
	v_lshrrev_b32_e32 v0, 7, v0
	v_mul_u32_u24_e32 v38, 0x1fe, v0
	v_lshl_add_u64 v[0:1], v[38:39], 4, v[16:17]
	v_lshl_add_u64 v[2:3], v[0:1], 0, s[0:1]
	global_store_dwordx4 v[0:1], v[28:31], off offset:3264
	global_store_dwordx4 v[2:3], v[24:27], off offset:4080
	v_add_co_u32_e32 v0, vcc, 0x2000, v0
	s_nop 1
	v_addc_co_u32_e32 v1, vcc, 0, v1, vcc
	global_store_dwordx4 v[0:1], v[20:23], off offset:3232
.LBB0_16:
	s_endpgm
	.section	.rodata,"a",@progbits
	.p2align	6, 0x0
	.amdhsa_kernel fft_rtc_back_len765_factors_17_3_5_3_wgs_255_tpt_51_halfLds_dp_op_CI_CI_unitstride_sbrr_dirReg
		.amdhsa_group_segment_fixed_size 0
		.amdhsa_private_segment_fixed_size 0
		.amdhsa_kernarg_size 104
		.amdhsa_user_sgpr_count 2
		.amdhsa_user_sgpr_dispatch_ptr 0
		.amdhsa_user_sgpr_queue_ptr 0
		.amdhsa_user_sgpr_kernarg_segment_ptr 1
		.amdhsa_user_sgpr_dispatch_id 0
		.amdhsa_user_sgpr_kernarg_preload_length 0
		.amdhsa_user_sgpr_kernarg_preload_offset 0
		.amdhsa_user_sgpr_private_segment_size 0
		.amdhsa_uses_dynamic_stack 0
		.amdhsa_enable_private_segment 0
		.amdhsa_system_sgpr_workgroup_id_x 1
		.amdhsa_system_sgpr_workgroup_id_y 0
		.amdhsa_system_sgpr_workgroup_id_z 0
		.amdhsa_system_sgpr_workgroup_info 0
		.amdhsa_system_vgpr_workitem_id 0
		.amdhsa_next_free_vgpr 150
		.amdhsa_next_free_sgpr 60
		.amdhsa_accum_offset 152
		.amdhsa_reserve_vcc 1
		.amdhsa_float_round_mode_32 0
		.amdhsa_float_round_mode_16_64 0
		.amdhsa_float_denorm_mode_32 3
		.amdhsa_float_denorm_mode_16_64 3
		.amdhsa_dx10_clamp 1
		.amdhsa_ieee_mode 1
		.amdhsa_fp16_overflow 0
		.amdhsa_tg_split 0
		.amdhsa_exception_fp_ieee_invalid_op 0
		.amdhsa_exception_fp_denorm_src 0
		.amdhsa_exception_fp_ieee_div_zero 0
		.amdhsa_exception_fp_ieee_overflow 0
		.amdhsa_exception_fp_ieee_underflow 0
		.amdhsa_exception_fp_ieee_inexact 0
		.amdhsa_exception_int_div_zero 0
	.end_amdhsa_kernel
	.text
.Lfunc_end0:
	.size	fft_rtc_back_len765_factors_17_3_5_3_wgs_255_tpt_51_halfLds_dp_op_CI_CI_unitstride_sbrr_dirReg, .Lfunc_end0-fft_rtc_back_len765_factors_17_3_5_3_wgs_255_tpt_51_halfLds_dp_op_CI_CI_unitstride_sbrr_dirReg
                                        ; -- End function
	.section	.AMDGPU.csdata,"",@progbits
; Kernel info:
; codeLenInByte = 12780
; NumSgprs: 66
; NumVgprs: 150
; NumAgprs: 0
; TotalNumVgprs: 150
; ScratchSize: 0
; MemoryBound: 1
; FloatMode: 240
; IeeeMode: 1
; LDSByteSize: 0 bytes/workgroup (compile time only)
; SGPRBlocks: 8
; VGPRBlocks: 18
; NumSGPRsForWavesPerEU: 66
; NumVGPRsForWavesPerEU: 150
; AccumOffset: 152
; Occupancy: 3
; WaveLimiterHint : 1
; COMPUTE_PGM_RSRC2:SCRATCH_EN: 0
; COMPUTE_PGM_RSRC2:USER_SGPR: 2
; COMPUTE_PGM_RSRC2:TRAP_HANDLER: 0
; COMPUTE_PGM_RSRC2:TGID_X_EN: 1
; COMPUTE_PGM_RSRC2:TGID_Y_EN: 0
; COMPUTE_PGM_RSRC2:TGID_Z_EN: 0
; COMPUTE_PGM_RSRC2:TIDIG_COMP_CNT: 0
; COMPUTE_PGM_RSRC3_GFX90A:ACCUM_OFFSET: 37
; COMPUTE_PGM_RSRC3_GFX90A:TG_SPLIT: 0
	.text
	.p2alignl 6, 3212836864
	.fill 256, 4, 3212836864
	.type	__hip_cuid_b79fa384685fe01c,@object ; @__hip_cuid_b79fa384685fe01c
	.section	.bss,"aw",@nobits
	.globl	__hip_cuid_b79fa384685fe01c
__hip_cuid_b79fa384685fe01c:
	.byte	0                               ; 0x0
	.size	__hip_cuid_b79fa384685fe01c, 1

	.ident	"AMD clang version 19.0.0git (https://github.com/RadeonOpenCompute/llvm-project roc-6.4.0 25133 c7fe45cf4b819c5991fe208aaa96edf142730f1d)"
	.section	".note.GNU-stack","",@progbits
	.addrsig
	.addrsig_sym __hip_cuid_b79fa384685fe01c
	.amdgpu_metadata
---
amdhsa.kernels:
  - .agpr_count:     0
    .args:
      - .actual_access:  read_only
        .address_space:  global
        .offset:         0
        .size:           8
        .value_kind:     global_buffer
      - .offset:         8
        .size:           8
        .value_kind:     by_value
      - .actual_access:  read_only
        .address_space:  global
        .offset:         16
        .size:           8
        .value_kind:     global_buffer
      - .actual_access:  read_only
        .address_space:  global
        .offset:         24
        .size:           8
        .value_kind:     global_buffer
      - .actual_access:  read_only
        .address_space:  global
        .offset:         32
        .size:           8
        .value_kind:     global_buffer
      - .offset:         40
        .size:           8
        .value_kind:     by_value
      - .actual_access:  read_only
        .address_space:  global
        .offset:         48
        .size:           8
        .value_kind:     global_buffer
      - .actual_access:  read_only
        .address_space:  global
        .offset:         56
        .size:           8
        .value_kind:     global_buffer
      - .offset:         64
        .size:           4
        .value_kind:     by_value
      - .actual_access:  read_only
        .address_space:  global
        .offset:         72
        .size:           8
        .value_kind:     global_buffer
      - .actual_access:  read_only
        .address_space:  global
        .offset:         80
        .size:           8
        .value_kind:     global_buffer
      - .actual_access:  read_only
        .address_space:  global
        .offset:         88
        .size:           8
        .value_kind:     global_buffer
      - .actual_access:  write_only
        .address_space:  global
        .offset:         96
        .size:           8
        .value_kind:     global_buffer
    .group_segment_fixed_size: 0
    .kernarg_segment_align: 8
    .kernarg_segment_size: 104
    .language:       OpenCL C
    .language_version:
      - 2
      - 0
    .max_flat_workgroup_size: 255
    .name:           fft_rtc_back_len765_factors_17_3_5_3_wgs_255_tpt_51_halfLds_dp_op_CI_CI_unitstride_sbrr_dirReg
    .private_segment_fixed_size: 0
    .sgpr_count:     66
    .sgpr_spill_count: 0
    .symbol:         fft_rtc_back_len765_factors_17_3_5_3_wgs_255_tpt_51_halfLds_dp_op_CI_CI_unitstride_sbrr_dirReg.kd
    .uniform_work_group_size: 1
    .uses_dynamic_stack: false
    .vgpr_count:     150
    .vgpr_spill_count: 0
    .wavefront_size: 64
amdhsa.target:   amdgcn-amd-amdhsa--gfx950
amdhsa.version:
  - 1
  - 2
...

	.end_amdgpu_metadata
